;; amdgpu-corpus repo=ROCm/rocFFT kind=compiled arch=gfx1030 opt=O3
	.text
	.amdgcn_target "amdgcn-amd-amdhsa--gfx1030"
	.amdhsa_code_object_version 6
	.protected	bluestein_single_fwd_len3645_dim1_sp_op_CI_CI ; -- Begin function bluestein_single_fwd_len3645_dim1_sp_op_CI_CI
	.globl	bluestein_single_fwd_len3645_dim1_sp_op_CI_CI
	.p2align	8
	.type	bluestein_single_fwd_len3645_dim1_sp_op_CI_CI,@function
bluestein_single_fwd_len3645_dim1_sp_op_CI_CI: ; @bluestein_single_fwd_len3645_dim1_sp_op_CI_CI
; %bb.0:
	s_load_dwordx4 s[12:15], s[4:5], 0x28
	v_mul_u32_u24_e32 v1, 0x10e, v0
	s_mov_b64 s[22:23], s[2:3]
	s_mov_b64 s[20:21], s[0:1]
	v_mov_b32_e32 v191, 0
	s_add_u32 s20, s20, s7
	v_lshrrev_b32_e32 v1, 16, v1
	s_addc_u32 s21, s21, 0
	s_mov_b32 s0, exec_lo
	v_add_nc_u32_e32 v190, s6, v1
	s_waitcnt lgkmcnt(0)
	v_cmpx_gt_u64_e64 s[12:13], v[190:191]
	s_cbranch_execz .LBB0_2
; %bb.1:
	s_clause 0x1
	s_load_dwordx4 s[0:3], s[4:5], 0x18
	s_load_dwordx4 s[8:11], s[4:5], 0x0
	v_mul_lo_u16 v1, 0xf3, v1
	v_mov_b32_e32 v103, 3
	s_load_dwordx2 s[4:5], s[4:5], 0x38
	v_sub_nc_u16 v102, v0, v1
	v_and_b32_e32 v182, 0xffff, v102
	v_lshlrev_b32_e32 v181, 3, v182
	v_add_co_u32 v105, null, 0x2d9, v182
	s_waitcnt lgkmcnt(0)
	s_load_dwordx4 s[16:19], s[0:1], 0x0
	s_clause 0x1
	global_load_dwordx2 v[148:149], v181, s[8:9]
	global_load_dwordx2 v[150:151], v181, s[8:9] offset:1944
	v_add_co_u32 v120, s0, s8, v181
	v_add_co_ci_u32_e64 v121, null, s9, 0, s0
	v_add_co_u32 v104, null, 0x3cc, v182
	v_add_co_u32 v4, vcc_lo, 0x1000, v120
	v_add_co_ci_u32_e32 v5, vcc_lo, 0, v121, vcc_lo
	v_add_co_u32 v6, vcc_lo, 0x2800, v120
	v_add_co_ci_u32_e32 v7, vcc_lo, 0, v121, vcc_lo
	global_load_dwordx2 v[152:153], v[4:5], off offset:1736
	v_add_co_u32 v106, null, 0x1e6, v182
	global_load_dwordx2 v[154:155], v[6:7], off offset:1424
	s_waitcnt lgkmcnt(0)
	v_mad_u64_u32 v[0:1], null, s18, v190, 0
	v_mad_u64_u32 v[2:3], null, s16, v182, 0
	s_mul_i32 s0, s17, 0x16c8
	s_mul_hi_u32 s1, s16, 0x16c8
	s_mul_i32 s6, s16, 0x16c8
	s_add_i32 s1, s1, s0
	s_mul_i32 s0, s17, 0xffffac78
	v_add_nc_u32_e32 v185, 0x1e00, v181
	v_mad_u64_u32 v[8:9], null, s19, v190, v[1:2]
	v_mad_u64_u32 v[11:12], null, s17, v182, v[3:4]
	v_add_co_u32 v9, vcc_lo, 0x4000, v120
	v_add_co_ci_u32_e32 v10, vcc_lo, 0, v121, vcc_lo
	v_mov_b32_e32 v1, v8
	v_add_co_u32 v12, vcc_lo, 0x5800, v120
	global_load_dwordx2 v[156:157], v[9:10], off offset:1112
	v_add_co_ci_u32_e32 v13, vcc_lo, 0, v121, vcc_lo
	v_add_co_u32 v16, vcc_lo, 0x1800, v120
	v_mov_b32_e32 v3, v11
	global_load_dwordx2 v[158:159], v[12:13], off offset:800
	v_lshlrev_b64 v[0:1], 3, v[0:1]
	v_add_co_ci_u32_e32 v17, vcc_lo, 0, v121, vcc_lo
	v_add_co_u32 v20, vcc_lo, 0x3000, v120
	v_add_co_ci_u32_e32 v21, vcc_lo, 0, v121, vcc_lo
	v_lshlrev_b64 v[2:3], 3, v[2:3]
	v_add_co_u32 v0, vcc_lo, s14, v0
	v_add_co_ci_u32_e32 v1, vcc_lo, s15, v1, vcc_lo
	s_sub_i32 s0, s0, s16
	v_add_co_u32 v0, vcc_lo, v0, v2
	v_add_co_ci_u32_e32 v1, vcc_lo, v1, v3, vcc_lo
	v_add_nc_u32_e32 v189, 0xf00, v181
	v_add_co_u32 v14, vcc_lo, v0, s6
	v_add_co_ci_u32_e32 v15, vcc_lo, s1, v1, vcc_lo
	v_add_co_u32 v22, vcc_lo, 0x4800, v120
	v_add_co_ci_u32_e32 v23, vcc_lo, 0, v121, vcc_lo
	;; [unrolled: 2-line block ×8, first 2 shown]
	v_mad_u64_u32 v[34:35], null, 0xffffac78, s16, v[30:31]
	v_add_co_u32 v36, vcc_lo, 0x3800, v120
	v_add_co_ci_u32_e32 v37, vcc_lo, 0, v121, vcc_lo
	s_clause 0x1
	global_load_dwordx2 v[2:3], v[0:1], off
	global_load_dwordx2 v[10:11], v[14:15], off
	v_add_nc_u32_e32 v35, s0, v35
	v_add_co_u32 v0, vcc_lo, v34, s6
	global_load_dwordx2 v[14:15], v[18:19], off
	global_load_dwordx2 v[160:161], v[16:17], off offset:1632
	global_load_dwordx2 v[18:19], v[26:27], off
	global_load_dwordx2 v[162:163], v[20:21], off offset:1320
	v_add_co_ci_u32_e32 v1, vcc_lo, s1, v35, vcc_lo
	v_add_co_u32 v4, vcc_lo, v0, s6
	s_clause 0x2
	global_load_dwordx2 v[172:173], v[22:23], off offset:1008
	global_load_dwordx2 v[164:165], v[24:25], off offset:696
	global_load_dwordx2 v[166:167], v[28:29], off offset:1840
	global_load_dwordx2 v[22:23], v[30:31], off
	global_load_dwordx2 v[168:169], v[32:33], off offset:1528
	global_load_dwordx2 v[24:25], v[34:35], off
	global_load_dwordx2 v[170:171], v[36:37], off offset:1216
	v_add_co_ci_u32_e32 v5, vcc_lo, s1, v1, vcc_lo
	v_add_co_u32 v6, vcc_lo, v4, s6
	global_load_dwordx2 v[20:21], v[0:1], off
	v_add_co_ci_u32_e32 v7, vcc_lo, s1, v5, vcc_lo
	v_add_co_u32 v8, vcc_lo, v6, s6
	global_load_dwordx2 v[12:13], v[4:5], off
	v_add_co_ci_u32_e32 v9, vcc_lo, s1, v7, vcc_lo
	v_mul_u32_u24_e32 v34, 5, v106
	v_add_nc_u32_e32 v186, 0x5b00, v181
	v_add_nc_u32_e32 v123, 0x3500, v181
	v_mad_u64_u32 v[26:27], null, 0xffffac78, s16, v[8:9]
	v_lshlrev_b32_e32 v196, 3, v34
	v_add_nc_u32_e32 v188, 0x2d80, v181
	v_add_nc_u32_e32 v184, 0x4bc0, v181
	;; [unrolled: 1-line block ×5, first 2 shown]
	v_add_co_u32 v0, vcc_lo, v26, s6
	v_add_co_u32 v107, s0, 0xf3, v182
	v_add_co_ci_u32_e32 v1, vcc_lo, s1, v27, vcc_lo
	v_add_co_u32 v28, vcc_lo, v0, s6
	v_add_co_ci_u32_e64 v80, null, 0, 0, s0
	v_add_co_ci_u32_e32 v29, vcc_lo, s1, v1, vcc_lo
	global_load_dwordx2 v[16:17], v[6:7], off
	global_load_dwordx2 v[8:9], v[8:9], off
	;; [unrolled: 1-line block ×5, first 2 shown]
	v_add_co_u32 v26, vcc_lo, v28, s6
	v_add_co_ci_u32_e32 v27, vcc_lo, s1, v29, vcc_lo
	v_add_co_u32 v28, vcc_lo, 0x5000, v120
	v_add_co_ci_u32_e32 v29, vcc_lo, 0, v121, vcc_lo
	;; [unrolled: 2-line block ×4, first 2 shown]
	global_load_dwordx2 v[26:27], v[26:27], off
	s_clause 0x1
	global_load_dwordx2 v[174:175], v[28:29], off offset:904
	global_load_dwordx2 v[176:177], v[30:31], off offset:592
	global_load_dwordx2 v[28:29], v[32:33], off
	v_mul_lo_u16 v32, v102, 5
	v_and_b32_e32 v30, 0xff, v102
	v_mul_u32_u24_e32 v33, 5, v107
	v_mov_b32_e32 v31, 0xcccd
	s_load_dwordx4 s[0:3], s[2:3], 0x0
	v_lshlrev_b32_sdwa v183, v103, v32 dst_sel:DWORD dst_unused:UNUSED_PAD src0_sel:DWORD src1_sel:WORD_0
	v_mul_lo_u16 v32, 0xcd, v30
	v_lshlrev_b32_e32 v199, 3, v33
	v_mul_u32_u24_sdwa v35, v106, v31 dst_sel:DWORD dst_unused:UNUSED_PAD src0_sel:WORD_0 src1_sel:DWORD
	v_mul_u32_u24_sdwa v36, v105, v31 dst_sel:DWORD dst_unused:UNUSED_PAD src0_sel:WORD_0 src1_sel:DWORD
	v_cmp_gt_u16_e32 vcc_lo, 0x87, v102
	v_lshrrev_b16 v37, 10, v32
	v_mul_u32_u24_sdwa v32, v107, v31 dst_sel:DWORD dst_unused:UNUSED_PAD src0_sel:WORD_0 src1_sel:DWORD
	v_mul_u32_u24_sdwa v31, v104, v31 dst_sel:DWORD dst_unused:UNUSED_PAD src0_sel:WORD_0 src1_sel:DWORD
	v_lshrrev_b32_e32 v39, 18, v35
	v_lshrrev_b32_e32 v40, 18, v36
	v_mul_lo_u16 v33, v37, 5
	v_lshrrev_b32_e32 v38, 18, v32
	v_lshrrev_b32_e32 v41, 18, v31
	v_sub_nc_u16 v42, v102, v33
	v_mul_lo_u16 v43, v38, 5
	s_waitcnt vmcnt(23)
	v_mul_f32_e32 v31, v3, v149
	s_waitcnt vmcnt(22)
	v_mul_f32_e32 v33, v11, v153
	v_mul_f32_e32 v32, v2, v149
	;; [unrolled: 1-line block ×3, first 2 shown]
	s_waitcnt vmcnt(21)
	v_mul_f32_e32 v35, v15, v155
	v_mul_f32_e32 v36, v14, v155
	v_fmac_f32_e32 v33, v10, v152
	s_waitcnt vmcnt(19)
	v_mul_f32_e32 v10, v18, v157
	v_fmac_f32_e32 v31, v2, v148
	v_fma_f32 v34, v11, v152, -v34
	v_fmac_f32_e32 v35, v14, v154
	v_fma_f32 v36, v15, v154, -v36
	v_mul_f32_e32 v2, v19, v157
	v_fma_f32 v32, v3, v148, -v32
	v_fma_f32 v3, v19, v156, -v10
	s_waitcnt vmcnt(14)
	v_mul_f32_e32 v10, v23, v159
	v_mul_f32_e32 v11, v22, v159
	s_waitcnt vmcnt(12)
	v_mul_f32_e32 v14, v25, v151
	v_mul_f32_e32 v15, v24, v151
	v_fmac_f32_e32 v2, v18, v156
	v_fmac_f32_e32 v10, v22, v158
	v_fma_f32 v11, v23, v158, -v11
	v_fmac_f32_e32 v14, v24, v150
	v_fma_f32 v15, v25, v150, -v15
	ds_write_b64 v181, v[33:34] offset:5832
	ds_write_b64 v181, v[35:36] offset:11664
	;; [unrolled: 1-line block ×4, first 2 shown]
	s_waitcnt vmcnt(9)
	v_mul_f32_e32 v10, v13, v163
	ds_write2_b64 v181, v[31:32], v[14:15] offset1:243
	v_mul_f32_e32 v11, v12, v163
	v_mul_f32_e32 v2, v21, v161
	v_mul_f32_e32 v3, v20, v161
	v_fmac_f32_e32 v10, v12, v162
	v_sub_nc_u16 v31, v107, v43
	v_fma_f32 v11, v13, v162, -v11
	v_fmac_f32_e32 v2, v20, v160
	v_mul_lo_u16 v20, v39, 5
	v_fma_f32 v3, v21, v160, -v3
	v_mul_lo_u16 v21, v40, 5
	v_mul_lo_u16 v34, v41, 5
	v_and_b32_e32 v32, 0xff, v42
	v_sub_nc_u16 v33, v106, v20
	v_lshlrev_b16 v20, 1, v31
	s_waitcnt vmcnt(8)
	v_mul_f32_e32 v15, v16, v173
	s_waitcnt vmcnt(7)
	v_mul_f32_e32 v14, v9, v165
	v_mul_f32_e32 v18, v8, v165
	v_mul_f32_e32 v12, v17, v173
	v_sub_nc_u16 v35, v105, v21
	v_fma_f32 v13, v17, v172, -v15
	v_fmac_f32_e32 v14, v8, v164
	s_waitcnt vmcnt(6)
	v_mul_f32_e32 v8, v7, v167
	s_waitcnt vmcnt(5)
	v_mul_f32_e32 v17, v4, v169
	v_fma_f32 v15, v9, v164, -v18
	v_mul_f32_e32 v9, v6, v167
	v_fmac_f32_e32 v12, v16, v172
	v_fmac_f32_e32 v8, v6, v166
	s_waitcnt vmcnt(4)
	v_mul_f32_e32 v6, v1, v171
	v_mul_f32_e32 v16, v5, v169
	v_fma_f32 v17, v5, v168, -v17
	v_mul_f32_e32 v5, v0, v171
	v_fma_f32 v9, v7, v166, -v9
	v_fmac_f32_e32 v6, v0, v170
	s_waitcnt vmcnt(2)
	v_mul_f32_e32 v0, v27, v175
	v_mul_f32_e32 v18, v26, v175
	v_fmac_f32_e32 v16, v4, v168
	s_waitcnt vmcnt(0)
	v_mul_f32_e32 v4, v29, v177
	v_mul_f32_e32 v19, v28, v177
	v_fma_f32 v7, v1, v170, -v5
	v_fmac_f32_e32 v0, v26, v174
	v_fma_f32 v1, v27, v174, -v18
	v_fmac_f32_e32 v4, v28, v176
	v_fma_f32 v5, v29, v176, -v19
	ds_write_b64 v181, v[8:9] offset:3888
	ds_write2_b64 v185, v[2:3], v[16:17] offset0:12 offset1:255
	ds_write2_b64 v123, v[10:11], v[6:7] offset0:5 offset1:248
	;; [unrolled: 1-line block ×4, first 2 shown]
	s_waitcnt lgkmcnt(0)
	s_barrier
	buffer_gl0_inv
	ds_read2_b64 v[0:3], v181 offset1:243
	ds_read2_b64 v[4:7], v189 offset0:6 offset1:249
	ds_read2_b64 v[8:11], v188 offset0:2 offset1:245
	;; [unrolled: 1-line block ×4, first 2 shown]
	v_lshlrev_b32_sdwa v43, v103, v20 dst_sel:DWORD dst_unused:UNUSED_PAD src0_sel:DWORD src1_sel:WORD_0
	ds_read2_b64 v[20:23], v185 offset0:12 offset1:255
	ds_read2_b64 v[24:27], v184 offset0:6 offset1:249
	ds_read_b64 v[28:29], v181 offset:27216
	v_lshlrev_b16 v42, 1, v33
	s_waitcnt lgkmcnt(0)
	s_barrier
	buffer_gl0_inv
	v_lshlrev_b32_e32 v36, 4, v32
	v_add_f32_e32 v44, v0, v6
	v_add_f32_e32 v51, v1, v7
	;; [unrolled: 1-line block ×12, first 2 shown]
	v_sub_f32_e32 v47, v6, v8
	v_sub_f32_e32 v49, v8, v6
	;; [unrolled: 1-line block ×4, first 2 shown]
	v_add_f32_e32 v58, v2, v20
	v_sub_f32_e32 v65, v10, v20
	v_sub_f32_e32 v66, v24, v18
	v_add_f32_e32 v67, v3, v21
	v_add_f32_e32 v75, v12, v26
	v_sub_f32_e32 v76, v13, v27
	v_sub_f32_e32 v77, v22, v12
	;; [unrolled: 1-line block ×3, first 2 shown]
	v_add_f32_e32 v81, v13, v27
	v_sub_f32_e32 v82, v12, v26
	v_sub_f32_e32 v83, v23, v13
	;; [unrolled: 1-line block ×3, first 2 shown]
	v_add_f32_e32 v86, v22, v28
	v_sub_f32_e32 v87, v22, v28
	v_add_f32_e32 v22, v23, v29
	v_sub_f32_e32 v93, v7, v17
	v_sub_f32_e32 v94, v6, v16
	v_add_f32_e32 v12, v74, v12
	v_add_f32_e32 v13, v79, v13
	v_fma_f32 v6, -0.5, v45, v0
	v_fma_f32 v7, -0.5, v52, v1
	v_sub_f32_e32 v46, v9, v15
	v_sub_f32_e32 v53, v8, v14
	v_add_f32_e32 v44, v44, v8
	v_add_f32_e32 v51, v51, v9
	v_fma_f32 v0, -0.5, v91, v0
	v_fma_f32 v1, -0.5, v92, v1
	v_sub_f32_e32 v55, v17, v15
	v_sub_f32_e32 v60, v21, v19
	;; [unrolled: 1-line block ×8, first 2 shown]
	v_fma_f32 v8, -0.5, v59, v2
	v_fma_f32 v9, -0.5, v68, v3
	v_sub_f32_e32 v48, v16, v14
	v_sub_f32_e32 v50, v14, v16
	;; [unrolled: 1-line block ×7, first 2 shown]
	v_fma_f32 v2, -0.5, v64, v2
	v_fmac_f32_e32 v3, -0.5, v72
	v_sub_f32_e32 v63, v18, v24
	v_add_f32_e32 v58, v58, v10
	v_add_f32_e32 v67, v67, v11
	;; [unrolled: 1-line block ×3, first 2 shown]
	v_fma_f32 v10, -0.5, v75, v4
	v_fma_f32 v11, -0.5, v81, v5
	;; [unrolled: 1-line block ×3, first 2 shown]
	v_fmac_f32_e32 v5, -0.5, v22
	v_add_f32_e32 v64, v12, v26
	v_add_f32_e32 v65, v13, v27
	v_fmamk_f32 v12, v93, 0x3f737871, v6
	v_fmamk_f32 v13, v94, 0xbf737871, v7
	v_add_f32_e32 v44, v44, v14
	v_add_f32_e32 v51, v51, v15
	v_fmamk_f32 v14, v46, 0xbf737871, v0
	v_fmac_f32_e32 v0, 0x3f737871, v46
	v_fmamk_f32 v15, v53, 0x3f737871, v1
	v_fmac_f32_e32 v1, 0xbf737871, v53
	v_fmac_f32_e32 v6, 0xbf737871, v93
	;; [unrolled: 1-line block ×3, first 2 shown]
	v_add_f32_e32 v45, v54, v55
	v_add_f32_e32 v54, v20, v71
	;; [unrolled: 1-line block ×3, first 2 shown]
	v_fmamk_f32 v20, v60, 0x3f737871, v8
	v_fmamk_f32 v21, v69, 0xbf737871, v9
	v_add_f32_e32 v47, v47, v48
	v_add_f32_e32 v48, v49, v50
	;; [unrolled: 1-line block ×4, first 2 shown]
	v_fmamk_f32 v22, v61, 0xbf737871, v2
	v_fmac_f32_e32 v2, 0x3f737871, v61
	v_fmamk_f32 v23, v70, 0x3f737871, v3
	v_fmac_f32_e32 v3, 0xbf737871, v70
	v_sub_f32_e32 v88, v26, v28
	v_sub_f32_e32 v89, v29, v27
	;; [unrolled: 1-line block ×3, first 2 shown]
	v_add_f32_e32 v50, v62, v63
	v_add_f32_e32 v58, v58, v24
	;; [unrolled: 1-line block ×3, first 2 shown]
	v_fmac_f32_e32 v8, 0xbf737871, v60
	v_fmac_f32_e32 v9, 0x3f737871, v69
	v_fmamk_f32 v24, v85, 0x3f737871, v10
	v_fmac_f32_e32 v10, 0xbf737871, v85
	v_fmamk_f32 v26, v76, 0xbf737871, v4
	;; [unrolled: 2-line block ×4, first 2 shown]
	v_fmac_f32_e32 v5, 0xbf737871, v82
	v_fmac_f32_e32 v12, 0x3f167918, v46
	;; [unrolled: 1-line block ×15, first 2 shown]
	v_add_f32_e32 v57, v78, v88
	v_add_f32_e32 v59, v83, v89
	;; [unrolled: 1-line block ×5, first 2 shown]
	v_fmac_f32_e32 v8, 0xbf167918, v61
	v_fmac_f32_e32 v9, 0x3f167918, v70
	;; [unrolled: 1-line block ×18, first 2 shown]
	v_add_f32_e32 v18, v58, v18
	v_add_f32_e32 v19, v63, v19
	v_fmac_f32_e32 v20, 0x3e9e377a, v50
	v_fmac_f32_e32 v21, 0x3e9e377a, v54
	;; [unrolled: 1-line block ×6, first 2 shown]
	v_add_f32_e32 v28, v64, v28
	v_add_f32_e32 v29, v65, v29
	v_fmac_f32_e32 v8, 0x3e9e377a, v50
	v_fmac_f32_e32 v9, 0x3e9e377a, v54
	;; [unrolled: 1-line block ×10, first 2 shown]
	ds_write2_b64 v183, v[16:17], v[12:13] offset1:1
	ds_write2_b64 v183, v[14:15], v[0:1] offset0:2 offset1:3
	ds_write_b64 v183, v[6:7] offset:32
	ds_write2_b64 v199, v[18:19], v[20:21] offset1:1
	ds_write2_b64 v199, v[22:23], v[2:3] offset0:2 offset1:3
	ds_write_b64 v199, v[8:9] offset:32
	ds_write2_b64 v196, v[28:29], v[24:25] offset1:1
	ds_write_b64 v196, v[10:11] offset:32
	ds_write2_b64 v196, v[26:27], v[4:5] offset0:2 offset1:3
	v_sub_nc_u16 v0, v104, v34
	v_lshlrev_b16 v1, 1, v35
	v_lshlrev_b32_sdwa v2, v103, v42 dst_sel:DWORD dst_unused:UNUSED_PAD src0_sel:DWORD src1_sel:WORD_0
	s_waitcnt lgkmcnt(0)
	s_barrier
	v_lshlrev_b16 v3, 1, v0
	buffer_gl0_inv
	s_clause 0x1
	global_load_dwordx4 v[60:63], v36, s[10:11]
	global_load_dwordx4 v[68:71], v2, s[10:11]
	v_lshlrev_b32_sdwa v1, v103, v1 dst_sel:DWORD dst_unused:UNUSED_PAD src0_sel:DWORD src1_sel:WORD_0
	v_lshlrev_b32_sdwa v2, v103, v3 dst_sel:DWORD dst_unused:UNUSED_PAD src0_sel:DWORD src1_sel:WORD_0
	s_clause 0x2
	global_load_dwordx4 v[64:67], v43, s[10:11]
	global_load_dwordx4 v[72:75], v1, s[10:11]
	;; [unrolled: 1-line block ×3, first 2 shown]
	v_mul_lo_u16 v1, 0x89, v30
	v_mov_b32_e32 v2, 0x8889
	v_mov_b32_e32 v3, 15
	v_mad_u16 v0, v41, 15, v0
	v_lshrrev_b16 v36, 11, v1
	v_mul_u32_u24_sdwa v1, v107, v2 dst_sel:DWORD dst_unused:UNUSED_PAD src0_sel:WORD_0 src1_sel:DWORD
	v_mul_u32_u24_sdwa v4, v106, v2 dst_sel:DWORD dst_unused:UNUSED_PAD src0_sel:WORD_0 src1_sel:DWORD
	;; [unrolled: 1-line block ×5, first 2 shown]
	v_lshrrev_b32_e32 v37, 19, v1
	v_mul_lo_u16 v6, v36, 15
	v_lshrrev_b32_e32 v42, 19, v4
	v_lshrrev_b32_e32 v43, 19, v5
	;; [unrolled: 1-line block ×3, first 2 shown]
	v_mul_lo_u16 v2, v37, 15
	v_sub_nc_u16 v1, v102, v6
	v_mul_lo_u16 v4, v42, 15
	v_mul_lo_u16 v5, v43, 15
	;; [unrolled: 1-line block ×3, first 2 shown]
	v_sub_nc_u16 v46, v107, v2
	v_and_b32_e32 v45, 0xff, v1
	v_sub_nc_u16 v47, v106, v4
	v_sub_nc_u16 v48, v105, v5
	;; [unrolled: 1-line block ×3, first 2 shown]
	v_lshlrev_b16 v4, 4, v46
	v_add_lshl_u32 v202, v3, v32, 3
	v_mad_u16 v1, v38, 15, v31
	v_mad_u16 v2, v39, 15, v33
	;; [unrolled: 1-line block ×3, first 2 shown]
	v_lshlrev_b16 v5, 4, v47
	v_lshlrev_b16 v6, 4, v48
	v_lshlrev_b16 v7, 4, v49
	v_and_b32_e32 v12, 0xffff, v4
	v_lshlrev_b32_sdwa v206, v103, v1 dst_sel:DWORD dst_unused:UNUSED_PAD src0_sel:DWORD src1_sel:WORD_0
	v_lshlrev_b32_sdwa v205, v103, v2 dst_sel:DWORD dst_unused:UNUSED_PAD src0_sel:DWORD src1_sel:WORD_0
	;; [unrolled: 1-line block ×4, first 2 shown]
	ds_read2_b64 v[0:3], v185 offset0:12 offset1:255
	v_and_b32_e32 v20, 0xffff, v5
	v_and_b32_e32 v38, 0xffff, v6
	;; [unrolled: 1-line block ×3, first 2 shown]
	ds_read2_b64 v[4:7], v184 offset0:6 offset1:249
	ds_read2_b64 v[8:11], v188 offset0:2 offset1:245
	v_add_co_u32 v28, s6, s10, v12
	ds_read2_b64 v[12:15], v186 offset0:4 offset1:247
	ds_read2_b64 v[16:19], v187 offset0:8 offset1:251
	v_add_co_ci_u32_e64 v29, null, s11, 0, s6
	v_add_co_u32 v31, s6, s10, v20
	ds_read2_b64 v[20:23], v181 offset1:243
	ds_read_b64 v[33:34], v181 offset:27216
	ds_read2_b64 v[24:27], v189 offset0:6 offset1:249
	v_add_co_ci_u32_e64 v32, null, s11, 0, s6
	s_waitcnt vmcnt(0) lgkmcnt(0)
	s_barrier
	buffer_gl0_inv
	v_lshlrev_b32_e32 v35, 4, v45
	v_mul_f32_e32 v40, v3, v61
	v_mul_f32_e32 v41, v2, v61
	;; [unrolled: 1-line block ×20, first 2 shown]
	v_fma_f32 v4, v4, v62, -v50
	v_fmac_f32_e32 v51, v5, v62
	v_fma_f32 v2, v2, v60, -v40
	v_fmac_f32_e32 v41, v3, v60
	v_fma_f32 v6, v6, v66, -v54
	v_fmac_f32_e32 v55, v7, v66
	v_fma_f32 v5, v8, v64, -v52
	v_fmac_f32_e32 v53, v9, v64
	v_fma_f32 v7, v10, v68, -v56
	v_fmac_f32_e32 v57, v11, v68
	v_fma_f32 v8, v12, v70, -v58
	v_fmac_f32_e32 v59, v13, v70
	v_fma_f32 v3, v16, v72, -v81
	v_fma_f32 v10, v14, v74, -v83
	v_fmac_f32_e32 v84, v15, v74
	v_fmac_f32_e32 v82, v17, v72
	v_fma_f32 v9, v18, v76, -v85
	v_fmac_f32_e32 v86, v19, v76
	v_fma_f32 v12, v33, v78, -v87
	v_fmac_f32_e32 v88, v34, v78
	v_add_f32_e32 v11, v2, v4
	v_add_f32_e32 v13, v41, v51
	;; [unrolled: 1-line block ×8, first 2 shown]
	v_sub_f32_e32 v18, v41, v51
	v_sub_f32_e32 v19, v2, v4
	v_add_f32_e32 v58, v26, v3
	v_add_f32_e32 v81, v3, v10
	;; [unrolled: 1-line block ×3, first 2 shown]
	v_sub_f32_e32 v85, v82, v84
	v_add_f32_e32 v82, v82, v84
	v_add_f32_e32 v87, v1, v86
	v_sub_f32_e32 v90, v3, v10
	v_sub_f32_e32 v91, v86, v88
	v_add_f32_e32 v86, v86, v88
	v_add_f32_e32 v92, v9, v12
	v_fma_f32 v2, -0.5, v11, v20
	v_fma_f32 v3, -0.5, v13, v21
	v_add_f32_e32 v33, v22, v5
	v_add_f32_e32 v34, v23, v53
	v_sub_f32_e32 v40, v53, v55
	v_sub_f32_e32 v41, v5, v6
	v_fma_f32 v22, -0.5, v16, v22
	v_fmac_f32_e32 v23, -0.5, v17
	v_add_f32_e32 v50, v24, v7
	v_sub_f32_e32 v53, v57, v59
	v_add_f32_e32 v54, v25, v57
	v_sub_f32_e32 v57, v7, v8
	v_add_f32_e32 v89, v0, v9
	v_add_f32_e32 v4, v14, v4
	;; [unrolled: 1-line block ×3, first 2 shown]
	v_fma_f32 v14, -0.5, v52, v24
	v_fma_f32 v15, -0.5, v56, v25
	v_sub_f32_e32 v93, v9, v12
	v_fma_f32 v26, -0.5, v81, v26
	v_fmac_f32_e32 v27, -0.5, v82
	v_fma_f32 v0, -0.5, v92, v0
	v_fmac_f32_e32 v1, -0.5, v86
	v_fmamk_f32 v16, v18, 0x3f5db3d7, v2
	v_fmamk_f32 v17, v19, 0xbf5db3d7, v3
	v_fmac_f32_e32 v2, 0xbf5db3d7, v18
	v_fmac_f32_e32 v3, 0x3f5db3d7, v19
	v_add_f32_e32 v6, v33, v6
	v_add_f32_e32 v7, v34, v55
	v_fmamk_f32 v18, v40, 0x3f5db3d7, v22
	v_fmamk_f32 v19, v41, 0xbf5db3d7, v23
	v_fmac_f32_e32 v22, 0xbf5db3d7, v40
	v_fmac_f32_e32 v23, 0x3f5db3d7, v41
	v_add_f32_e32 v8, v50, v8
	v_add_f32_e32 v9, v54, v59
	;; [unrolled: 1-line block ×3, first 2 shown]
	v_fmamk_f32 v20, v53, 0x3f5db3d7, v14
	v_fmamk_f32 v21, v57, 0xbf5db3d7, v15
	v_add_f32_e32 v11, v83, v84
	v_add_f32_e32 v10, v58, v10
	;; [unrolled: 1-line block ×3, first 2 shown]
	v_fmac_f32_e32 v14, 0xbf5db3d7, v53
	v_fmac_f32_e32 v15, 0x3f5db3d7, v57
	v_fmamk_f32 v24, v85, 0x3f5db3d7, v26
	v_fmac_f32_e32 v26, 0xbf5db3d7, v85
	v_fmamk_f32 v25, v90, 0xbf5db3d7, v27
	;; [unrolled: 2-line block ×4, first 2 shown]
	v_fmac_f32_e32 v1, 0x3f5db3d7, v93
	ds_write2_b64 v202, v[4:5], v[16:17] offset1:5
	ds_write_b64 v202, v[2:3] offset:80
	ds_write2_b64 v206, v[6:7], v[18:19] offset1:5
	ds_write_b64 v206, v[22:23] offset:80
	ds_write2_b64 v205, v[8:9], v[20:21] offset1:5
	ds_write_b64 v205, v[14:15] offset:80
	ds_write2_b64 v203, v[10:11], v[24:25] offset1:5
	ds_write_b64 v203, v[26:27] offset:80
	ds_write2_b64 v204, v[12:13], v[33:34] offset1:5
	ds_write_b64 v204, v[0:1] offset:80
	v_add_co_u32 v12, s6, s10, v38
	v_add_co_ci_u32_e64 v13, null, s11, 0, s6
	v_add_co_u32 v16, s6, s10, v39
	v_add_co_ci_u32_e64 v17, null, s11, 0, s6
	s_waitcnt lgkmcnt(0)
	s_barrier
	buffer_gl0_inv
	s_clause 0x4
	global_load_dwordx4 v[0:3], v35, s[10:11] offset:80
	global_load_dwordx4 v[4:7], v[28:29], off offset:80
	global_load_dwordx4 v[8:11], v[31:32], off offset:80
	;; [unrolled: 1-line block ×4, first 2 shown]
	v_mul_lo_u16 v20, 0x6d, v30
	v_mov_b32_e32 v21, 0x2d83
	v_mov_b32_e32 v22, 45
	v_lshrrev_b16 v20, 8, v20
	v_mul_u32_u24_sdwa v23, v107, v21 dst_sel:DWORD dst_unused:UNUSED_PAD src0_sel:WORD_0 src1_sel:DWORD
	v_mul_u32_u24_sdwa v24, v106, v21 dst_sel:DWORD dst_unused:UNUSED_PAD src0_sel:WORD_0 src1_sel:DWORD
	;; [unrolled: 1-line block ×4, first 2 shown]
	v_sub_nc_u16 v26, v102, v20
	v_lshrrev_b32_e32 v54, 19, v23
	v_lshrrev_b32_e32 v55, 19, v24
	;; [unrolled: 1-line block ×4, first 2 shown]
	v_lshrrev_b16 v21, 1, v26
	v_mul_lo_u16 v23, v54, 45
	v_mul_lo_u16 v24, v55, 45
	;; [unrolled: 1-line block ×4, first 2 shown]
	v_and_b32_e32 v21, 0x7f, v21
	v_sub_nc_u16 v58, v107, v23
	v_sub_nc_u16 v59, v106, v24
	;; [unrolled: 1-line block ×4, first 2 shown]
	v_add_nc_u16 v20, v21, v20
	v_lshlrev_b16 v25, 4, v58
	v_mul_u32_u24_sdwa v22, v36, v22 dst_sel:DWORD dst_unused:UNUSED_PAD src0_sel:WORD_0 src1_sel:DWORD
	v_lshlrev_b16 v26, 4, v59
	v_lshlrev_b16 v28, 4, v82
	v_lshrrev_b16 v83, 5, v20
	v_and_b32_e32 v29, 0xffff, v25
	v_add_lshl_u32 v191, v22, v45, 3
	v_mad_u16 v22, v37, 45, v46
	v_mad_u16 v23, v42, 45, v47
	v_mul_lo_u16 v20, v83, 45
	v_mad_u16 v24, v43, 45, v48
	v_mad_u16 v21, v44, 45, v49
	v_lshlrev_b16 v27, 4, v81
	v_and_b32_e32 v32, 0xffff, v26
	v_and_b32_e32 v85, 0xffff, v28
	v_sub_nc_u16 v28, v102, v20
	v_add_co_u32 v48, s6, s10, v29
	v_lshlrev_b32_sdwa v194, v103, v22 dst_sel:DWORD dst_unused:UNUSED_PAD src0_sel:DWORD src1_sel:WORD_0
	v_lshlrev_b32_sdwa v193, v103, v23 dst_sel:DWORD dst_unused:UNUSED_PAD src0_sel:DWORD src1_sel:WORD_0
	;; [unrolled: 1-line block ×4, first 2 shown]
	v_and_b32_e32 v84, 0xffff, v27
	ds_read2_b64 v[20:23], v184 offset0:6 offset1:249
	ds_read2_b64 v[24:27], v188 offset0:2 offset1:245
	v_add_co_ci_u32_e64 v49, null, s11, 0, s6
	v_and_b32_e32 v86, 0xff, v28
	ds_read2_b64 v[28:31], v186 offset0:4 offset1:247
	v_add_co_u32 v50, s6, s10, v32
	ds_read2_b64 v[32:35], v187 offset0:8 offset1:251
	ds_read2_b64 v[36:39], v185 offset0:12 offset1:255
	ds_read2_b64 v[40:43], v181 offset1:243
	ds_read_b64 v[52:53], v181 offset:27216
	ds_read2_b64 v[44:47], v189 offset0:6 offset1:249
	v_add_co_ci_u32_e64 v51, null, s11, 0, s6
	s_waitcnt vmcnt(0) lgkmcnt(0)
	s_barrier
	buffer_gl0_inv
	v_lshlrev_b32_e32 v87, 4, v86
	v_mul_f32_e32 v88, v21, v3
	v_mul_f32_e32 v89, v20, v3
	;; [unrolled: 1-line block ×20, first 2 shown]
	v_fma_f32 v20, v20, v2, -v88
	v_fmac_f32_e32 v89, v21, v2
	v_fma_f32 v88, v22, v6, -v92
	v_fmac_f32_e32 v93, v23, v6
	;; [unrolled: 2-line block ×3, first 2 shown]
	v_fma_f32 v23, v32, v12, -v100
	v_fma_f32 v24, v34, v16, -v108
	v_fmac_f32_e32 v111, v39, v0
	v_fmac_f32_e32 v109, v35, v16
	v_fma_f32 v25, v38, v0, -v110
	v_fmac_f32_e32 v112, v53, v18
	v_fma_f32 v32, v52, v18, -v113
	v_fma_f32 v22, v26, v8, -v94
	v_fmac_f32_e32 v95, v27, v8
	v_fma_f32 v26, v28, v10, -v96
	v_fmac_f32_e32 v97, v29, v10
	;; [unrolled: 2-line block ×3, first 2 shown]
	v_fmac_f32_e32 v101, v33, v12
	v_add_f32_e32 v28, v111, v89
	v_add_f32_e32 v31, v25, v20
	;; [unrolled: 1-line block ×5, first 2 shown]
	v_sub_f32_e32 v115, v109, v112
	v_add_f32_e32 v109, v109, v112
	v_add_f32_e32 v116, v24, v32
	;; [unrolled: 1-line block ×3, first 2 shown]
	v_sub_f32_e32 v39, v25, v20
	v_add_f32_e32 v25, v43, v91
	v_sub_f32_e32 v52, v91, v93
	v_add_f32_e32 v90, v45, v95
	;; [unrolled: 2-line block ×3, first 2 shown]
	v_add_f32_e32 v95, v22, v26
	v_add_f32_e32 v27, v41, v111
	v_sub_f32_e32 v38, v111, v89
	v_add_f32_e32 v34, v42, v21
	v_sub_f32_e32 v53, v21, v88
	v_add_f32_e32 v94, v44, v22
	v_sub_f32_e32 v96, v22, v26
	v_add_f32_e32 v98, v47, v101
	v_sub_f32_e32 v100, v101, v99
	v_add_f32_e32 v101, v101, v99
	v_add_f32_e32 v108, v46, v23
	;; [unrolled: 1-line block ×3, first 2 shown]
	v_sub_f32_e32 v111, v23, v30
	v_add_f32_e32 v114, v36, v24
	v_sub_f32_e32 v117, v24, v32
	v_fma_f32 v22, -0.5, v31, v40
	v_fma_f32 v23, -0.5, v28, v41
	;; [unrolled: 1-line block ×3, first 2 shown]
	v_fmac_f32_e32 v43, -0.5, v33
	v_fma_f32 v36, -0.5, v116, v36
	v_fmac_f32_e32 v37, -0.5, v109
	v_add_f32_e32 v20, v29, v20
	v_fma_f32 v28, -0.5, v95, v44
	v_fma_f32 v29, -0.5, v92, v45
	v_add_f32_e32 v21, v27, v89
	v_add_f32_e32 v24, v34, v88
	v_fma_f32 v46, -0.5, v110, v46
	v_fmac_f32_e32 v47, -0.5, v101
	v_add_f32_e32 v33, v113, v112
	v_add_f32_e32 v32, v114, v32
	v_fmamk_f32 v34, v38, 0x3f5db3d7, v22
	v_fmamk_f32 v35, v39, 0xbf5db3d7, v23
	v_fmac_f32_e32 v22, 0xbf5db3d7, v38
	v_fmac_f32_e32 v23, 0x3f5db3d7, v39
	v_fmamk_f32 v38, v52, 0x3f5db3d7, v42
	v_fmamk_f32 v39, v53, 0xbf5db3d7, v43
	v_fmac_f32_e32 v42, 0xbf5db3d7, v52
	v_fmac_f32_e32 v43, 0x3f5db3d7, v53
	;; [unrolled: 4-line block ×3, first 2 shown]
	v_add_f32_e32 v25, v25, v93
	v_add_f32_e32 v27, v90, v97
	;; [unrolled: 1-line block ×3, first 2 shown]
	v_fmamk_f32 v40, v91, 0x3f5db3d7, v28
	v_fmamk_f32 v41, v96, 0xbf5db3d7, v29
	v_add_f32_e32 v31, v98, v99
	v_add_f32_e32 v30, v108, v30
	v_fmac_f32_e32 v28, 0xbf5db3d7, v91
	v_fmac_f32_e32 v29, 0x3f5db3d7, v96
	v_fmamk_f32 v44, v100, 0x3f5db3d7, v46
	v_fmamk_f32 v45, v111, 0xbf5db3d7, v47
	v_fmac_f32_e32 v46, 0xbf5db3d7, v100
	v_fmac_f32_e32 v47, 0x3f5db3d7, v111
	ds_write2_b64 v191, v[20:21], v[34:35] offset1:15
	ds_write_b64 v191, v[22:23] offset:240
	ds_write2_b64 v194, v[24:25], v[38:39] offset1:15
	ds_write_b64 v194, v[42:43] offset:240
	;; [unrolled: 2-line block ×4, first 2 shown]
	buffer_store_dword v118, off, s[20:23], 0 ; 4-byte Folded Spill
	ds_write2_b64 v118, v[32:33], v[52:53] offset1:15
	ds_write_b64 v118, v[36:37] offset:240
	v_add_co_u32 v32, s6, s10, v84
	v_add_co_ci_u32_e64 v33, null, s11, 0, s6
	v_add_co_u32 v36, s6, s10, v85
	v_add_co_ci_u32_e64 v37, null, s11, 0, s6
	s_waitcnt lgkmcnt(0)
	s_waitcnt_vscnt null, 0x0
	s_barrier
	buffer_gl0_inv
	s_clause 0x4
	global_load_dwordx4 v[20:23], v87, s[10:11] offset:320
	global_load_dwordx4 v[24:27], v[48:49], off offset:320
	global_load_dwordx4 v[28:31], v[50:51], off offset:320
	;; [unrolled: 1-line block ×4, first 2 shown]
	v_mov_b32_e32 v40, 0x795d
	v_add_co_u32 v41, s6, 0xffffff79, v182
	v_add_co_ci_u32_e64 v43, null, 0, -1, s6
	v_mul_u32_u24_sdwa v44, v106, v40 dst_sel:DWORD dst_unused:UNUSED_PAD src0_sel:WORD_0 src1_sel:DWORD
	v_cndmask_b32_e32 v89, v41, v182, vcc_lo
	v_mul_u32_u24_sdwa v41, v107, v40 dst_sel:DWORD dst_unused:UNUSED_PAD src0_sel:WORD_0 src1_sel:DWORD
	v_mul_u32_u24_sdwa v45, v105, v40 dst_sel:DWORD dst_unused:UNUSED_PAD src0_sel:WORD_0 src1_sel:DWORD
	v_mul_u32_u24_sdwa v40, v104, v40 dst_sel:DWORD dst_unused:UNUSED_PAD src0_sel:WORD_0 src1_sel:DWORD
	v_lshrrev_b32_e32 v99, 22, v44
	v_cndmask_b32_e64 v90, v43, 0, vcc_lo
	v_lshrrev_b32_e32 v98, 22, v41
	v_lshrrev_b32_e32 v110, 22, v45
	;; [unrolled: 1-line block ×3, first 2 shown]
	v_mul_lo_u16 v44, 0x87, v99
	v_lshlrev_b64 v[40:41], 4, v[89:90]
	v_mul_lo_u16 v43, 0x87, v98
	v_mul_lo_u16 v45, 0x87, v110
	;; [unrolled: 1-line block ×3, first 2 shown]
	v_sub_nc_u16 v113, v106, v44
	v_mov_b32_e32 v42, 0x87
	v_sub_nc_u16 v111, v107, v43
	v_sub_nc_u16 v114, v105, v45
	;; [unrolled: 1-line block ×3, first 2 shown]
	v_add_co_u32 v90, vcc_lo, s10, v40
	v_lshlrev_b16 v45, 4, v111
	v_lshlrev_b16 v46, 4, v113
	v_add_co_ci_u32_e32 v91, vcc_lo, s11, v41, vcc_lo
	v_mad_u16 v40, 0x87, v54, v58
	v_mad_u16 v41, 0x87, v55, v59
	;; [unrolled: 1-line block ×4, first 2 shown]
	v_lshlrev_b16 v47, 4, v114
	v_lshlrev_b16 v48, 4, v115
	v_and_b32_e32 v49, 0xffff, v45
	v_and_b32_e32 v52, 0xffff, v46
	v_mul_u32_u24_sdwa v53, v83, v42 dst_sel:DWORD dst_unused:UNUSED_PAD src0_sel:WORD_0 src1_sel:DWORD
	v_lshlrev_b32_sdwa v200, v103, v40 dst_sel:DWORD dst_unused:UNUSED_PAD src0_sel:DWORD src1_sel:WORD_0
	v_lshlrev_b32_sdwa v198, v103, v41 dst_sel:DWORD dst_unused:UNUSED_PAD src0_sel:DWORD src1_sel:WORD_0
	;; [unrolled: 1-line block ×4, first 2 shown]
	v_and_b32_e32 v100, 0xffff, v47
	v_and_b32_e32 v101, 0xffff, v48
	ds_read2_b64 v[40:43], v184 offset0:6 offset1:249
	ds_read2_b64 v[44:47], v188 offset0:2 offset1:245
	v_add_co_u32 v92, s6, s10, v49
	ds_read2_b64 v[48:51], v186 offset0:4 offset1:247
	v_add_co_ci_u32_e64 v93, null, s11, 0, s6
	v_add_co_u32 v94, s6, s10, v52
	v_add_lshl_u32 v201, v53, v86, 3
	ds_read2_b64 v[52:55], v187 offset0:8 offset1:251
	ds_read2_b64 v[56:59], v185 offset0:12 offset1:255
	ds_read2_b64 v[81:84], v181 offset1:243
	ds_read_b64 v[96:97], v181 offset:27216
	ds_read2_b64 v[85:88], v189 offset0:6 offset1:249
	v_add_co_ci_u32_e64 v95, null, s11, 0, s6
	s_waitcnt vmcnt(0) lgkmcnt(0)
	s_barrier
	buffer_gl0_inv
	v_cmp_lt_u16_e32 vcc_lo, 0x86, v102
	v_lshlrev_b32_e32 v106, 4, v106
	v_mul_f32_e32 v108, v41, v23
	v_mul_f32_e32 v109, v40, v23
	;; [unrolled: 1-line block ×20, first 2 shown]
	v_fma_f32 v40, v40, v22, -v108
	v_fmac_f32_e32 v109, v41, v22
	v_fma_f32 v41, v44, v24, -v118
	v_fmac_f32_e32 v119, v45, v24
	v_fmac_f32_e32 v125, v47, v28
	v_fma_f32 v44, v48, v30, -v126
	v_fma_f32 v47, v54, v36, -v132
	v_fmac_f32_e32 v135, v59, v20
	v_fma_f32 v48, v58, v20, -v134
	v_fma_f32 v42, v42, v26, -v116
	v_fmac_f32_e32 v117, v43, v26
	v_fma_f32 v43, v46, v28, -v124
	v_fmac_f32_e32 v127, v49, v30
	;; [unrolled: 2-line block ×4, first 2 shown]
	v_fmac_f32_e32 v133, v55, v36
	v_fma_f32 v50, v96, v38, -v136
	v_fmac_f32_e32 v137, v97, v38
	v_add_f32_e32 v51, v135, v109
	v_add_f32_e32 v52, v81, v48
	;; [unrolled: 1-line block ×3, first 2 shown]
	v_sub_f32_e32 v59, v48, v40
	v_add_f32_e32 v48, v84, v119
	v_add_f32_e32 v136, v56, v47
	;; [unrolled: 1-line block ×4, first 2 shown]
	v_sub_f32_e32 v96, v119, v117
	v_add_f32_e32 v116, v86, v125
	v_sub_f32_e32 v118, v125, v127
	v_add_f32_e32 v119, v125, v127
	v_add_f32_e32 v125, v43, v44
	;; [unrolled: 1-line block ×3, first 2 shown]
	v_sub_f32_e32 v58, v135, v109
	v_add_f32_e32 v55, v83, v41
	v_add_f32_e32 v124, v85, v43
	v_sub_f32_e32 v126, v43, v44
	v_add_f32_e32 v128, v88, v131
	v_sub_f32_e32 v130, v131, v129
	v_add_f32_e32 v131, v131, v129
	v_add_f32_e32 v134, v45, v46
	;; [unrolled: 1-line block ×3, first 2 shown]
	v_sub_f32_e32 v139, v133, v137
	v_add_f32_e32 v133, v133, v137
	v_add_f32_e32 v140, v47, v50
	v_sub_f32_e32 v141, v47, v50
	v_add_f32_e32 v43, v48, v117
	v_add_f32_e32 v48, v136, v50
	v_fma_f32 v50, -0.5, v53, v81
	v_fma_f32 v51, -0.5, v51, v82
	v_sub_f32_e32 v108, v41, v42
	v_fma_f32 v83, -0.5, v97, v83
	v_fmac_f32_e32 v84, -0.5, v54
	v_add_f32_e32 v40, v52, v40
	v_fma_f32 v52, -0.5, v125, v85
	v_fma_f32 v53, -0.5, v119, v86
	v_add_f32_e32 v132, v87, v45
	v_sub_f32_e32 v138, v45, v46
	v_add_f32_e32 v41, v49, v109
	v_add_f32_e32 v42, v55, v42
	v_fma_f32 v87, -0.5, v134, v87
	v_fmac_f32_e32 v88, -0.5, v131
	v_fma_f32 v56, -0.5, v140, v56
	v_fmac_f32_e32 v57, -0.5, v133
	v_fmamk_f32 v54, v58, 0x3f5db3d7, v50
	v_fmamk_f32 v55, v59, 0xbf5db3d7, v51
	v_fmac_f32_e32 v50, 0xbf5db3d7, v58
	v_fmac_f32_e32 v51, 0x3f5db3d7, v59
	v_fmamk_f32 v58, v96, 0x3f5db3d7, v83
	v_fmamk_f32 v59, v108, 0xbf5db3d7, v84
	v_fmac_f32_e32 v83, 0xbf5db3d7, v96
	v_fmac_f32_e32 v84, 0x3f5db3d7, v108
	v_add_f32_e32 v45, v116, v127
	v_add_f32_e32 v44, v124, v44
	v_fmamk_f32 v81, v118, 0x3f5db3d7, v52
	v_fmamk_f32 v82, v126, 0xbf5db3d7, v53
	v_add_f32_e32 v47, v128, v129
	v_add_f32_e32 v46, v132, v46
	;; [unrolled: 1-line block ×3, first 2 shown]
	v_fmac_f32_e32 v52, 0xbf5db3d7, v118
	v_fmac_f32_e32 v53, 0x3f5db3d7, v126
	v_fmamk_f32 v85, v130, 0x3f5db3d7, v87
	v_fmamk_f32 v86, v138, 0xbf5db3d7, v88
	v_fmac_f32_e32 v87, 0xbf5db3d7, v130
	v_fmac_f32_e32 v88, 0x3f5db3d7, v138
	v_fmamk_f32 v96, v139, 0x3f5db3d7, v56
	v_fmac_f32_e32 v56, 0xbf5db3d7, v139
	v_fmamk_f32 v97, v141, 0xbf5db3d7, v57
	v_fmac_f32_e32 v57, 0x3f5db3d7, v141
	ds_write2_b64 v201, v[40:41], v[54:55] offset1:45
	ds_write_b64 v201, v[50:51] offset:720
	ds_write2_b64 v200, v[42:43], v[58:59] offset1:45
	ds_write_b64 v200, v[83:84] offset:720
	;; [unrolled: 2-line block ×5, first 2 shown]
	v_add_co_u32 v40, s6, s10, v100
	v_add_co_ci_u32_e64 v41, null, s11, 0, s6
	v_add_co_u32 v42, s6, s10, v101
	s_waitcnt lgkmcnt(0)
	s_barrier
	buffer_gl0_inv
	s_clause 0x1
	global_load_dwordx4 v[56:59], v[90:91], off offset:1040
	global_load_dwordx4 v[52:55], v[92:93], off offset:1040
	v_add_co_ci_u32_e64 v43, null, s11, 0, s6
	s_clause 0x2
	global_load_dwordx4 v[48:51], v[94:95], off offset:1040
	global_load_dwordx4 v[44:47], v[40:41], off offset:1040
	;; [unrolled: 1-line block ×3, first 2 shown]
	v_mov_b32_e32 v81, 0x43a3
	v_cndmask_b32_e64 v82, 0, 0x195, vcc_lo
	v_add_co_u32 v84, s6, 0xffffff5e, v182
	v_cmp_gt_u16_e32 vcc_lo, 0xa2, v102
	v_mul_u32_u24_sdwa v83, v105, v81 dst_sel:DWORD dst_unused:UNUSED_PAD src0_sel:WORD_0 src1_sel:DWORD
	v_mul_u32_u24_sdwa v81, v104, v81 dst_sel:DWORD dst_unused:UNUSED_PAD src0_sel:WORD_0 src1_sel:DWORD
	v_add_co_ci_u32_e64 v85, null, 0, -1, s6
	v_cndmask_b32_e32 v100, v84, v107, vcc_lo
	v_lshrrev_b32_e32 v83, 16, v83
	v_lshrrev_b32_e32 v84, 16, v81
	v_cndmask_b32_e32 v101, v85, v80, vcc_lo
	v_lshlrev_b32_e32 v86, 4, v182
	v_add_lshl_u32 v207, v89, v82, 3
	v_sub_nc_u16 v85, v105, v83
	v_sub_nc_u16 v82, v104, v84
	v_lshlrev_b64 v[80:81], 4, v[100:101]
	v_add_co_u32 v108, s6, s10, v86
	v_lshrrev_b16 v85, 1, v85
	v_lshrrev_b16 v82, 1, v82
	v_add_co_ci_u32_e64 v109, null, s11, 0, s6
	v_add_co_u32 v124, vcc_lo, 0x800, v108
	v_add_nc_u16 v83, v85, v83
	v_add_nc_u16 v82, v82, v84
	v_add_co_ci_u32_e32 v125, vcc_lo, 0, v109, vcc_lo
	v_add_co_u32 v126, vcc_lo, 0x1000, v108
	v_lshrrev_b16 v101, 8, v83
	v_add_co_ci_u32_e32 v127, vcc_lo, 0, v109, vcc_lo
	v_add_co_u32 v80, vcc_lo, s10, v80
	v_lshrrev_b16 v82, 8, v82
	v_add_co_ci_u32_e32 v81, vcc_lo, s11, v81, vcc_lo
	v_mul_lo_u16 v83, 0x195, v101
	v_add_co_u32 v128, vcc_lo, 0x800, v80
	v_mul_lo_u16 v80, 0x195, v82
	v_add_co_ci_u32_e32 v129, vcc_lo, 0, v81, vcc_lo
	v_mad_u16 v81, 0x195, v98, v111
	v_sub_nc_u16 v111, v105, v83
	v_mad_u16 v83, 0x195, v110, v114
	v_sub_nc_u16 v110, v104, v80
	v_mad_u16 v82, 0x195, v99, v113
	v_lshlrev_b32_sdwa v209, v103, v81 dst_sel:DWORD dst_unused:UNUSED_PAD src0_sel:DWORD src1_sel:WORD_0
	v_lshlrev_b16 v81, 4, v111
	v_mad_u16 v80, 0x195, v112, v115
	v_lshlrev_b16 v84, 4, v110
	v_lshlrev_b32_sdwa v210, v103, v82 dst_sel:DWORD dst_unused:UNUSED_PAD src0_sel:DWORD src1_sel:WORD_0
	v_lshlrev_b32_sdwa v211, v103, v83 dst_sel:DWORD dst_unused:UNUSED_PAD src0_sel:DWORD src1_sel:WORD_0
	v_and_b32_e32 v88, 0xffff, v81
	v_lshlrev_b32_sdwa v208, v103, v80 dst_sel:DWORD dst_unused:UNUSED_PAD src0_sel:DWORD src1_sel:WORD_0
	v_and_b32_e32 v92, 0xffff, v84
	ds_read2_b64 v[80:83], v184 offset0:6 offset1:249
	ds_read2_b64 v[84:87], v188 offset0:2 offset1:245
	v_add_co_u32 v132, s6, s10, v88
	v_add_co_ci_u32_e64 v133, null, s11, 0, s6
	ds_read2_b64 v[88:91], v186 offset0:4 offset1:247
	v_add_co_u32 v134, s6, s10, v92
	ds_read2_b64 v[92:95], v187 offset0:8 offset1:251
	ds_read2_b64 v[96:99], v185 offset0:12 offset1:255
	ds_read2_b64 v[112:115], v181 offset1:243
	ds_read_b64 v[130:131], v181 offset:27216
	ds_read2_b64 v[116:119], v189 offset0:6 offset1:249
	v_add_co_ci_u32_e64 v135, null, s11, 0, s6
	s_waitcnt vmcnt(0) lgkmcnt(0)
	s_barrier
	buffer_gl0_inv
	v_lshlrev_b32_e32 v107, 4, v107
	v_lshlrev_b32_e32 v105, 4, v105
	v_mul_f32_e32 v136, v81, v59
	v_mul_f32_e32 v137, v80, v59
	;; [unrolled: 1-line block ×20, first 2 shown]
	v_fma_f32 v80, v80, v58, -v136
	v_fmac_f32_e32 v137, v81, v58
	v_fmac_f32_e32 v141, v85, v52
	;; [unrolled: 1-line block ×3, first 2 shown]
	v_fma_f32 v85, v98, v56, -v214
	v_fma_f32 v136, v82, v54, -v138
	v_fmac_f32_e32 v139, v83, v54
	v_fma_f32 v81, v84, v52, -v140
	v_fma_f32 v82, v86, v48, -v142
	v_fmac_f32_e32 v143, v87, v48
	v_fma_f32 v88, v88, v50, -v144
	v_fmac_f32_e32 v145, v89, v50
	;; [unrolled: 2-line block ×6, first 2 shown]
	v_add_f32_e32 v87, v215, v137
	v_add_f32_e32 v91, v85, v80
	;; [unrolled: 1-line block ×7, first 2 shown]
	v_sub_f32_e32 v98, v215, v137
	v_add_f32_e32 v89, v112, v85
	v_sub_f32_e32 v99, v85, v80
	v_add_f32_e32 v94, v114, v81
	v_add_f32_e32 v142, v116, v82
	v_sub_f32_e32 v144, v82, v88
	v_add_f32_e32 v146, v119, v180
	;; [unrolled: 3-line block ×3, first 2 shown]
	v_add_f32_e32 v214, v97, v213
	v_add_f32_e32 v215, v83, v90
	v_sub_f32_e32 v216, v83, v90
	v_sub_f32_e32 v218, v213, v217
	v_add_f32_e32 v213, v213, v217
	v_add_f32_e32 v220, v84, v92
	v_fma_f32 v82, -0.5, v91, v112
	v_fma_f32 v83, -0.5, v87, v113
	v_add_f32_e32 v85, v115, v141
	v_sub_f32_e32 v130, v141, v139
	v_sub_f32_e32 v131, v81, v136
	v_fma_f32 v114, -0.5, v95, v114
	v_fmac_f32_e32 v115, -0.5, v93
	v_add_f32_e32 v141, v117, v143
	v_sub_f32_e32 v143, v143, v145
	v_add_f32_e32 v81, v86, v137
	v_fma_f32 v86, -0.5, v138, v116
	v_fma_f32 v87, -0.5, v140, v117
	v_add_f32_e32 v219, v96, v84
	v_sub_f32_e32 v221, v84, v92
	v_add_f32_e32 v80, v89, v80
	v_add_f32_e32 v84, v94, v136
	v_fma_f32 v118, -0.5, v215, v118
	v_fmac_f32_e32 v119, -0.5, v180
	v_fma_f32 v96, -0.5, v220, v96
	v_fmac_f32_e32 v97, -0.5, v213
	v_fmamk_f32 v94, v98, 0x3f5db3d7, v82
	v_fmamk_f32 v95, v99, 0xbf5db3d7, v83
	v_fmac_f32_e32 v82, 0xbf5db3d7, v98
	v_fmac_f32_e32 v83, 0x3f5db3d7, v99
	v_add_f32_e32 v85, v85, v139
	v_fmamk_f32 v98, v130, 0x3f5db3d7, v114
	v_fmamk_f32 v99, v131, 0xbf5db3d7, v115
	v_fmac_f32_e32 v114, 0xbf5db3d7, v130
	v_fmac_f32_e32 v115, 0x3f5db3d7, v131
	v_add_f32_e32 v89, v141, v145
	v_add_f32_e32 v88, v142, v88
	v_fmamk_f32 v112, v143, 0x3f5db3d7, v86
	v_fmamk_f32 v113, v144, 0xbf5db3d7, v87
	v_add_f32_e32 v91, v146, v147
	v_add_f32_e32 v90, v179, v90
	;; [unrolled: 1-line block ×4, first 2 shown]
	v_fmac_f32_e32 v86, 0xbf5db3d7, v143
	v_fmac_f32_e32 v87, 0x3f5db3d7, v144
	v_fmamk_f32 v116, v212, 0x3f5db3d7, v118
	v_fmamk_f32 v117, v216, 0xbf5db3d7, v119
	v_fmac_f32_e32 v118, 0xbf5db3d7, v212
	v_fmac_f32_e32 v119, 0x3f5db3d7, v216
	v_fmamk_f32 v130, v218, 0x3f5db3d7, v96
	v_fmamk_f32 v131, v221, 0xbf5db3d7, v97
	v_fmac_f32_e32 v96, 0xbf5db3d7, v218
	v_fmac_f32_e32 v97, 0x3f5db3d7, v221
	ds_write2_b64 v207, v[80:81], v[94:95] offset1:135
	ds_write_b64 v207, v[82:83] offset:2160
	ds_write2_b64 v209, v[84:85], v[98:99] offset1:135
	ds_write_b64 v209, v[114:115] offset:2160
	;; [unrolled: 2-line block ×5, first 2 shown]
	v_add_co_u32 v80, vcc_lo, 0x800, v132
	v_add_co_ci_u32_e32 v81, vcc_lo, 0, v133, vcc_lo
	v_add_co_u32 v92, vcc_lo, 0x800, v134
	v_add_co_ci_u32_e32 v93, vcc_lo, 0, v135, vcc_lo
	s_waitcnt lgkmcnt(0)
	s_barrier
	buffer_gl0_inv
	s_clause 0x4
	global_load_dwordx4 v[96:99], v[124:125], off offset:1152
	global_load_dwordx4 v[88:91], v[128:129], off offset:1152
	global_load_dwordx4 v[84:87], v[126:127], off offset:400
	global_load_dwordx4 v[80:83], v[80:81], off offset:1152
	global_load_dwordx4 v[92:95], v[92:93], off offset:1152
	v_cmp_lt_u16_e32 vcc_lo, 0xa1, v102
	v_lshlrev_b32_e32 v142, 4, v104
	v_lshlrev_b32_sdwa v214, v103, v110 dst_sel:DWORD dst_unused:UNUSED_PAD src0_sel:DWORD src1_sel:WORD_0
	v_cndmask_b32_e64 v102, 0, 0x4bf, vcc_lo
	v_add_co_u32 v108, vcc_lo, 0x2000, v108
	v_add_co_ci_u32_e32 v109, vcc_lo, 0, v109, vcc_lo
	v_add_lshl_u32 v213, v100, v102, 3
	v_add_co_u32 v100, s6, s10, v107
	v_add_co_ci_u32_e64 v102, null, s11, 0, s6
	v_add_co_u32 v119, s6, s10, v106
	v_add_co_ci_u32_e64 v124, null, s11, 0, s6
	v_add_co_u32 v136, vcc_lo, 0x2000, v100
	v_mad_u16 v100, 0x4bf, v101, v111
	v_add_co_u32 v143, s6, s10, v105
	ds_read2_b64 v[104:107], v184 offset0:6 offset1:249
	v_add_co_ci_u32_e32 v137, vcc_lo, 0, v102, vcc_lo
	v_add_co_u32 v138, vcc_lo, 0x2000, v119
	ds_read2_b64 v[111:114], v188 offset0:2 offset1:245
	ds_read2_b64 v[115:118], v186 offset0:4 offset1:247
	v_add_co_ci_u32_e32 v139, vcc_lo, 0, v124, vcc_lo
	v_lshlrev_b32_sdwa v215, v103, v100 dst_sel:DWORD dst_unused:UNUSED_PAD src0_sel:DWORD src1_sel:WORD_0
	ds_read2_b64 v[100:103], v187 offset0:8 offset1:251
	ds_read2_b64 v[124:127], v185 offset0:12 offset1:255
	ds_read2_b64 v[128:131], v181 offset1:243
	ds_read_b64 v[140:141], v181 offset:27216
	ds_read2_b64 v[132:135], v189 offset0:6 offset1:249
	s_waitcnt vmcnt(0) lgkmcnt(0)
	s_barrier
	buffer_gl0_inv
	v_add_co_ci_u32_e64 v144, null, s11, 0, s6
	v_mul_f32_e32 v110, v105, v99
	v_mul_f32_e32 v119, v104, v99
	;; [unrolled: 1-line block ×20, first 2 shown]
	v_fma_f32 v104, v104, v98, -v110
	v_fmac_f32_e32 v119, v105, v98
	v_fmac_f32_e32 v221, v101, v80
	v_fma_f32 v101, v102, v92, -v222
	v_fma_f32 v102, v126, v96, -v224
	v_fmac_f32_e32 v225, v127, v96
	v_fma_f32 v105, v106, v90, -v145
	v_fmac_f32_e32 v146, v107, v90
	;; [unrolled: 2-line block ×8, first 2 shown]
	v_add_f32_e32 v103, v128, v102
	v_add_f32_e32 v111, v129, v225
	;; [unrolled: 1-line block ×6, first 2 shown]
	v_sub_f32_e32 v116, v225, v119
	v_sub_f32_e32 v117, v102, v104
	v_add_f32_e32 v126, v130, v106
	v_add_f32_e32 v140, v131, v179
	v_sub_f32_e32 v141, v179, v146
	v_sub_f32_e32 v145, v106, v105
	v_add_f32_e32 v106, v132, v107
	v_add_f32_e32 v147, v133, v212
	v_sub_f32_e32 v179, v212, v217
	v_add_f32_e32 v180, v212, v217
	v_add_f32_e32 v212, v107, v110
	;; [unrolled: 1-line block ×5, first 2 shown]
	v_sub_f32_e32 v225, v100, v112
	v_add_f32_e32 v226, v101, v114
	v_add_f32_e32 v228, v124, v101
	;; [unrolled: 1-line block ×3, first 2 shown]
	v_sub_f32_e32 v231, v101, v114
	v_add_f32_e32 v100, v103, v104
	v_add_f32_e32 v101, v111, v119
	v_fma_f32 v102, -0.5, v115, v128
	v_fma_f32 v103, -0.5, v113, v129
	;; [unrolled: 1-line block ×3, first 2 shown]
	v_fmac_f32_e32 v131, -0.5, v127
	v_sub_f32_e32 v216, v107, v110
	v_add_f32_e32 v224, v135, v221
	v_sub_f32_e32 v221, v221, v219
	v_add_f32_e32 v230, v125, v223
	;; [unrolled: 2-line block ×3, first 2 shown]
	v_fma_f32 v110, -0.5, v212, v132
	v_fma_f32 v111, -0.5, v180, v133
	;; [unrolled: 1-line block ×3, first 2 shown]
	v_fmac_f32_e32 v135, -0.5, v222
	v_fma_f32 v124, -0.5, v226, v124
	v_fmac_f32_e32 v125, -0.5, v229
	ds_write_b64 v181, v[100:101]
	v_fmamk_f32 v100, v116, 0x3f5db3d7, v102
	v_fmamk_f32 v101, v117, 0xbf5db3d7, v103
	v_fmac_f32_e32 v102, 0xbf5db3d7, v116
	v_fmac_f32_e32 v103, 0x3f5db3d7, v117
	v_fmamk_f32 v116, v141, 0x3f5db3d7, v130
	v_fmac_f32_e32 v130, 0xbf5db3d7, v141
	v_fmamk_f32 v117, v145, 0xbf5db3d7, v131
	v_fmac_f32_e32 v131, 0x3f5db3d7, v145
	v_add_f32_e32 v104, v126, v105
	v_add_f32_e32 v105, v140, v146
	;; [unrolled: 1-line block ×7, first 2 shown]
	v_fmamk_f32 v118, v179, 0x3f5db3d7, v110
	v_fmamk_f32 v119, v216, 0xbf5db3d7, v111
	v_fmac_f32_e32 v110, 0xbf5db3d7, v179
	v_fmac_f32_e32 v111, 0x3f5db3d7, v216
	v_fmamk_f32 v126, v221, 0x3f5db3d7, v134
	v_fmac_f32_e32 v134, 0xbf5db3d7, v221
	v_fmamk_f32 v127, v225, 0xbf5db3d7, v135
	;; [unrolled: 2-line block ×4, first 2 shown]
	v_fmac_f32_e32 v125, 0x3f5db3d7, v231
	ds_write_b64 v181, v[100:101] offset:3240
	ds_write_b64 v181, v[102:103] offset:6480
	;; [unrolled: 1-line block ×3, first 2 shown]
	ds_write_b64 v213, v[104:105]
	ds_write_b64 v213, v[116:117] offset:3240
	ds_write_b64 v181, v[106:107] offset:10368
	;; [unrolled: 1-line block ×5, first 2 shown]
	ds_write_b64 v215, v[112:113]
	ds_write_b64 v215, v[126:127] offset:3240
	ds_write_b64 v214, v[124:125] offset:25920
	;; [unrolled: 1-line block ×4, first 2 shown]
	v_add_co_u32 v106, s6, s10, v142
	v_add_co_ci_u32_e64 v107, null, s11, 0, s6
	v_add_co_u32 v104, vcc_lo, 0x2000, v143
	v_add_co_ci_u32_e32 v105, vcc_lo, 0, v144, vcc_lo
	s_waitcnt lgkmcnt(0)
	s_barrier
	buffer_gl0_inv
	global_load_dwordx4 v[116:119], v[108:109], off offset:1488
	v_add_co_u32 v108, vcc_lo, 0x2000, v106
	s_clause 0x1
	global_load_dwordx4 v[112:115], v[136:137], off offset:1488
	global_load_dwordx4 v[100:103], v[138:139], off offset:1488
	v_add_co_ci_u32_e32 v109, vcc_lo, 0, v107, vcc_lo
	s_clause 0x1
	global_load_dwordx4 v[104:107], v[104:105], off offset:1488
	global_load_dwordx4 v[108:111], v[108:109], off offset:1488
	ds_read2_b64 v[124:127], v184 offset0:6 offset1:249
	ds_read2_b64 v[128:131], v188 offset0:2 offset1:245
	;; [unrolled: 1-line block ×5, first 2 shown]
	ds_read2_b64 v[144:147], v181 offset1:243
	ds_read_b64 v[220:221], v181 offset:27216
	ds_read2_b64 v[216:219], v189 offset0:6 offset1:249
	v_add_co_u32 v179, vcc_lo, 0x7000, v120
	v_add_co_ci_u32_e32 v180, vcc_lo, 0, v121, vcc_lo
	v_add_nc_u32_e32 v212, 0x5380, v181
	s_mul_i32 s6, s1, 0x16c8
	s_waitcnt vmcnt(4) lgkmcnt(7)
	v_mul_f32_e32 v222, v125, v119
	v_mul_f32_e32 v223, v124, v119
	s_waitcnt vmcnt(3)
	v_mul_f32_e32 v225, v126, v115
	s_waitcnt lgkmcnt(5)
	v_mul_f32_e32 v230, v135, v117
	v_mul_f32_e32 v231, v134, v117
	;; [unrolled: 1-line block ×5, first 2 shown]
	s_waitcnt vmcnt(2)
	v_mul_f32_e32 v228, v131, v101
	v_mul_f32_e32 v229, v130, v101
	s_waitcnt lgkmcnt(4)
	v_mul_f32_e32 v232, v137, v103
	v_mul_f32_e32 v233, v136, v103
	s_waitcnt vmcnt(1)
	v_mul_f32_e32 v234, v139, v107
	v_mul_f32_e32 v235, v138, v107
	s_waitcnt lgkmcnt(3)
	v_mul_f32_e32 v236, v141, v105
	v_mul_f32_e32 v237, v140, v105
	;; [unrolled: 6-line block ×3, first 2 shown]
	v_fma_f32 v124, v124, v118, -v222
	v_fmac_f32_e32 v223, v125, v118
	v_fmac_f32_e32 v225, v127, v114
	v_fma_f32 v127, v134, v116, -v230
	v_fmac_f32_e32 v231, v135, v116
	v_fma_f32 v222, v126, v114, -v224
	v_fma_f32 v125, v128, v112, -v226
	v_fmac_f32_e32 v227, v129, v112
	v_fma_f32 v126, v130, v100, -v228
	v_fmac_f32_e32 v229, v131, v100
	;; [unrolled: 2-line block ×7, first 2 shown]
	v_add_f32_e32 v131, v231, v223
	v_add_f32_e32 v137, v127, v124
	;; [unrolled: 1-line block ×4, first 2 shown]
	v_sub_f32_e32 v220, v227, v225
	v_add_f32_e32 v141, v227, v225
	v_add_f32_e32 v221, v125, v222
	;; [unrolled: 1-line block ×4, first 2 shown]
	v_sub_f32_e32 v142, v231, v223
	v_add_f32_e32 v135, v144, v127
	v_sub_f32_e32 v143, v127, v124
	v_sub_f32_e32 v230, v126, v134
	s_waitcnt lgkmcnt(0)
	v_add_f32_e32 v231, v216, v126
	v_add_f32_e32 v234, v219, v237
	v_sub_f32_e32 v236, v237, v235
	v_add_f32_e32 v237, v237, v235
	v_add_f32_e32 v238, v128, v136
	;; [unrolled: 1-line block ×3, first 2 shown]
	v_sub_f32_e32 v244, v239, v241
	v_add_f32_e32 v239, v239, v241
	v_add_f32_e32 v245, v129, v138
	v_fma_f32 v126, -0.5, v137, v144
	v_fma_f32 v127, -0.5, v131, v145
	v_add_f32_e32 v139, v146, v125
	v_sub_f32_e32 v224, v125, v222
	v_sub_f32_e32 v228, v229, v233
	v_add_f32_e32 v125, v130, v223
	v_fma_f32 v146, -0.5, v221, v146
	v_fmac_f32_e32 v147, -0.5, v141
	v_fma_f32 v130, -0.5, v226, v216
	v_fma_f32 v131, -0.5, v227, v217
	v_add_f32_e32 v229, v217, v229
	v_add_f32_e32 v232, v218, v128
	v_sub_f32_e32 v240, v128, v136
	v_add_f32_e32 v242, v132, v129
	v_sub_f32_e32 v246, v129, v138
	v_add_f32_e32 v129, v140, v225
	v_fma_f32 v218, -0.5, v238, v218
	v_fmac_f32_e32 v219, -0.5, v237
	v_fma_f32 v132, -0.5, v245, v132
	v_fmac_f32_e32 v133, -0.5, v239
	v_fmamk_f32 v140, v142, 0x3f5db3d7, v126
	v_fmamk_f32 v141, v143, 0xbf5db3d7, v127
	v_fmac_f32_e32 v126, 0xbf5db3d7, v142
	v_fmac_f32_e32 v127, 0x3f5db3d7, v143
	v_add_f32_e32 v124, v135, v124
	v_add_f32_e32 v128, v139, v222
	v_fmamk_f32 v142, v220, 0x3f5db3d7, v146
	v_fmac_f32_e32 v146, 0xbf5db3d7, v220
	v_fmamk_f32 v143, v224, 0xbf5db3d7, v147
	v_fmac_f32_e32 v147, 0x3f5db3d7, v224
	;; [unrolled: 2-line block ×4, first 2 shown]
	v_add_f32_e32 v134, v231, v134
	v_add_f32_e32 v135, v229, v233
	;; [unrolled: 1-line block ×6, first 2 shown]
	v_fmamk_f32 v216, v236, 0x3f5db3d7, v218
	v_fmac_f32_e32 v218, 0xbf5db3d7, v236
	v_fmamk_f32 v217, v240, 0xbf5db3d7, v219
	v_fmac_f32_e32 v219, 0x3f5db3d7, v240
	v_fmamk_f32 v220, v244, 0x3f5db3d7, v132
	v_fmamk_f32 v221, v246, 0xbf5db3d7, v133
	v_fmac_f32_e32 v132, 0xbf5db3d7, v244
	v_fmac_f32_e32 v133, 0x3f5db3d7, v246
	ds_write_b64 v181, v[140:141] offset:9720
	ds_write_b64 v181, v[126:127] offset:19440
	ds_write2_b64 v181, v[124:125], v[128:129] offset1:243
	ds_write2_b64 v212, v[146:147], v[130:131] offset0:1 offset1:244
	ds_write2_b64 v188, v[142:143], v[144:145] offset0:2 offset1:245
	ds_write2_b64 v189, v[134:135], v[136:137] offset0:6 offset1:249
	ds_write_b64 v181, v[218:219] offset:25272
	ds_write_b64 v181, v[138:139] offset:7776
	ds_write2_b64 v187, v[216:217], v[220:221] offset0:8 offset1:251
	ds_write_b64 v181, v[132:133] offset:27216
	s_waitcnt lgkmcnt(0)
	s_barrier
	buffer_gl0_inv
	global_load_dwordx2 v[128:129], v[179:180], off offset:488
	v_add_co_u32 v124, vcc_lo, 0x71e8, v120
	v_add_co_ci_u32_e32 v125, vcc_lo, 0, v121, vcc_lo
	v_add_co_u32 v126, vcc_lo, 0x9800, v120
	v_add_co_ci_u32_e32 v127, vcc_lo, 0, v121, vcc_lo
	;; [unrolled: 2-line block ×5, first 2 shown]
	s_clause 0x3
	global_load_dwordx2 v[179:180], v[126:127], off offset:1912
	global_load_dwordx2 v[216:217], v[130:131], off offset:176
	;; [unrolled: 1-line block ×4, first 2 shown]
	v_add_co_u32 v124, vcc_lo, 0xc800, v120
	v_add_co_ci_u32_e32 v125, vcc_lo, 0, v121, vcc_lo
	v_add_co_u32 v126, vcc_lo, 0xd000, v120
	v_add_co_ci_u32_e32 v127, vcc_lo, 0, v121, vcc_lo
	;; [unrolled: 2-line block ×3, first 2 shown]
	s_clause 0x1
	global_load_dwordx2 v[218:219], v[134:135], off offset:1808
	global_load_dwordx2 v[220:221], v[124:125], off offset:1288
	v_add_co_u32 v124, vcc_lo, 0x9000, v120
	v_add_co_ci_u32_e32 v125, vcc_lo, 0, v121, vcc_lo
	s_clause 0x1
	global_load_dwordx2 v[222:223], v[126:127], off offset:1184
	global_load_dwordx2 v[224:225], v[130:131], off offset:280
	v_add_co_u32 v126, vcc_lo, 0xb000, v120
	v_add_co_ci_u32_e32 v127, vcc_lo, 0, v121, vcc_lo
	v_add_co_u32 v130, vcc_lo, 0xa800, v120
	v_add_co_ci_u32_e32 v131, vcc_lo, 0, v121, vcc_lo
	s_clause 0x1
	global_load_dwordx2 v[226:227], v[124:125], off offset:72
	global_load_dwordx2 v[228:229], v[124:125], off offset:2016
	v_add_co_u32 v124, vcc_lo, 0xb800, v120
	v_add_co_ci_u32_e32 v125, vcc_lo, 0, v121, vcc_lo
	v_add_co_u32 v120, vcc_lo, 0xc000, v120
	v_add_co_ci_u32_e32 v121, vcc_lo, 0, v121, vcc_lo
	s_clause 0x3
	global_load_dwordx2 v[230:231], v[126:127], off offset:1600
	global_load_dwordx2 v[232:233], v[130:131], off offset:1704
	;; [unrolled: 1-line block ×4, first 2 shown]
	ds_read2_b64 v[124:127], v181 offset1:243
	ds_read_b64 v[144:145], v181 offset:27216
	v_add_nc_u32_e32 v242, 0x1680, v181
	v_add_nc_u32_e32 v243, 0x4400, v181
	;; [unrolled: 1-line block ×4, first 2 shown]
	s_waitcnt vmcnt(14) lgkmcnt(1)
	v_mul_f32_e32 v131, v125, v129
	v_mul_f32_e32 v130, v124, v129
	v_fma_f32 v129, v124, v128, -v131
	v_fmac_f32_e32 v130, v125, v128
	ds_write_b64 v181, v[129:130]
	ds_read2_b64 v[128:131], v188 offset0:2 offset1:245
	ds_read2_b64 v[132:135], v186 offset0:4 offset1:247
	;; [unrolled: 1-line block ×3, first 2 shown]
	s_waitcnt vmcnt(11)
	v_mul_f32_e32 v124, v127, v141
	v_mul_f32_e32 v237, v126, v141
	s_waitcnt vmcnt(10) lgkmcnt(4)
	v_mul_f32_e32 v125, v145, v143
	v_mul_f32_e32 v239, v144, v143
	v_fma_f32 v236, v126, v140, -v124
	v_fmac_f32_e32 v237, v127, v140
	v_fma_f32 v238, v144, v142, -v125
	v_fmac_f32_e32 v239, v145, v142
	ds_read2_b64 v[124:127], v185 offset0:12 offset1:255
	ds_read2_b64 v[140:143], v187 offset0:8 offset1:251
	;; [unrolled: 1-line block ×3, first 2 shown]
	s_waitcnt lgkmcnt(5)
	v_mul_f32_e32 v241, v128, v180
	v_mul_f32_e32 v240, v129, v180
	s_waitcnt vmcnt(9)
	v_mul_f32_e32 v180, v130, v219
	v_mul_f32_e32 v246, v131, v219
	s_waitcnt vmcnt(8) lgkmcnt(4)
	v_mul_f32_e32 v219, v133, v221
	v_fmac_f32_e32 v241, v129, v179
	v_mul_f32_e32 v129, v132, v221
	s_waitcnt vmcnt(7)
	v_mul_f32_e32 v247, v135, v223
	s_waitcnt vmcnt(6) lgkmcnt(3)
	v_mul_f32_e32 v248, v137, v225
	v_fmac_f32_e32 v180, v131, v218
	v_mul_f32_e32 v131, v134, v223
	v_fma_f32 v240, v128, v179, -v240
	v_fma_f32 v179, v130, v218, -v246
	v_mul_f32_e32 v246, v139, v217
	v_mul_f32_e32 v218, v138, v217
	v_fma_f32 v128, v132, v220, -v219
	v_fmac_f32_e32 v129, v133, v220
	s_waitcnt vmcnt(5) lgkmcnt(2)
	v_mul_f32_e32 v132, v125, v227
	v_mul_f32_e32 v133, v124, v227
	v_mul_f32_e32 v221, v136, v225
	v_fma_f32 v220, v136, v224, -v248
	v_fma_f32 v130, v134, v222, -v247
	v_fmac_f32_e32 v131, v135, v222
	s_waitcnt vmcnt(4)
	v_mul_f32_e32 v134, v127, v229
	v_mul_f32_e32 v135, v126, v229
	s_waitcnt vmcnt(3) lgkmcnt(1)
	v_mul_f32_e32 v219, v143, v231
	v_mul_f32_e32 v223, v142, v231
	s_waitcnt vmcnt(1) lgkmcnt(0)
	v_mul_f32_e32 v136, v145, v235
	v_mul_f32_e32 v225, v144, v235
	v_fma_f32 v217, v138, v216, -v246
	v_mul_f32_e32 v229, v141, v233
	v_mul_f32_e32 v138, v140, v233
	v_fmac_f32_e32 v218, v139, v216
	s_waitcnt vmcnt(0)
	v_mul_f32_e32 v139, v147, v121
	v_mul_f32_e32 v227, v146, v121
	v_fma_f32 v132, v124, v226, -v132
	v_fmac_f32_e32 v133, v125, v226
	v_fmac_f32_e32 v221, v137, v224
	v_fma_f32 v222, v142, v230, -v219
	v_fmac_f32_e32 v223, v143, v230
	v_fma_f32 v224, v144, v234, -v136
	;; [unrolled: 2-line block ×5, first 2 shown]
	v_fmac_f32_e32 v227, v147, v120
	ds_write2_b64 v242, v[217:218], v[132:133] offset0:9 offset1:252
	ds_write2_b64 v243, v[222:223], v[224:225] offset0:11 offset1:254
	;; [unrolled: 1-line block ×7, first 2 shown]
	s_waitcnt lgkmcnt(0)
	s_barrier
	buffer_gl0_inv
	ds_read2_b64 v[120:123], v189 offset0:6 offset1:249
	ds_read2_b64 v[132:135], v188 offset0:2 offset1:245
	;; [unrolled: 1-line block ×4, first 2 shown]
	ds_read2_b64 v[124:127], v181 offset1:243
	ds_read2_b64 v[140:143], v184 offset0:6 offset1:249
	ds_read2_b64 v[144:147], v185 offset0:12 offset1:255
	ds_read_b64 v[216:217], v181 offset:27216
	v_mad_u64_u32 v[179:180], null, s2, v190, 0
	s_waitcnt lgkmcnt(0)
	s_barrier
	buffer_gl0_inv
	s_mul_i32 s2, s0, 0x16c8
	v_sub_f32_e32 v222, v123, v133
	v_add_f32_e32 v221, v133, v139
	v_sub_f32_e32 v226, v133, v139
	v_add_f32_e32 v225, v125, v123
	v_add_f32_e32 v224, v124, v122
	v_sub_f32_e32 v230, v133, v123
	v_add_f32_e32 v234, v126, v144
	v_sub_f32_e32 v218, v122, v132
	v_add_f32_e32 v133, v225, v133
	v_add_f32_e32 v220, v132, v138
	v_sub_f32_e32 v223, v129, v139
	v_sub_f32_e32 v227, v132, v138
	v_sub_f32_e32 v228, v132, v122
	v_sub_f32_e32 v231, v139, v129
	v_sub_f32_e32 v235, v134, v144
	v_add_f32_e32 v244, v120, v146
	v_add_f32_e32 v245, v121, v147
	v_sub_f32_e32 v248, v146, v136
	v_add_f32_e32 v132, v224, v132
	v_add_f32_e32 v224, v234, v134
	v_sub_f32_e32 v234, v136, v146
	v_sub_f32_e32 v250, v147, v137
	v_add_f32_e32 v252, v133, v139
	v_sub_f32_e32 v139, v137, v147
	v_sub_f32_e32 v253, v147, v217
	v_add_f32_e32 v254, v146, v216
	v_sub_f32_e32 v255, v146, v216
	v_add_f32_e32 v146, v147, v217
	v_sub_f32_e32 v147, v140, v130
	v_sub_f32_e32 v219, v128, v138
	v_add_f32_e32 v238, v127, v145
	v_sub_f32_e32 v229, v138, v128
	v_sub_f32_e32 v239, v135, v145
	v_add_f32_e32 v251, v132, v138
	v_mov_b32_e32 v138, v180
	v_add_f32_e32 v180, v235, v147
	v_sub_f32_e32 v147, v141, v131
	v_add_f32_e32 v237, v145, v131
	v_sub_f32_e32 v241, v145, v131
	v_sub_f32_e32 v145, v145, v135
	v_add_f32_e32 v246, v136, v142
	v_sub_f32_e32 v247, v137, v143
	v_add_f32_e32 v225, v238, v135
	v_add_f32_e32 v238, v137, v143
	v_sub_f32_e32 v249, v136, v142
	v_add_f32_e32 v244, v244, v136
	v_add_f32_e32 v245, v245, v137
	;; [unrolled: 1-line block ×5, first 2 shown]
	v_sub_f32_e32 v219, v131, v141
	v_add_f32_e32 v232, v134, v140
	v_add_f32_e32 v233, v144, v130
	;; [unrolled: 1-line block ×6, first 2 shown]
	v_sub_f32_e32 v147, v216, v142
	v_sub_f32_e32 v240, v135, v141
	;; [unrolled: 1-line block ×5, first 2 shown]
	v_fma_f32 v134, -0.5, v220, v124
	v_fma_f32 v135, -0.5, v221, v125
	;; [unrolled: 1-line block ×4, first 2 shown]
	v_add_f32_e32 v228, v230, v231
	v_sub_f32_e32 v218, v130, v140
	v_add_f32_e32 v231, v145, v219
	v_sub_f32_e32 v219, v123, v129
	v_sub_f32_e32 v123, v143, v217
	;; [unrolled: 1-line block ×3, first 2 shown]
	v_fma_f32 v136, -0.5, v232, v126
	v_fma_f32 v126, -0.5, v233, v126
	;; [unrolled: 1-line block ×3, first 2 shown]
	v_fmac_f32_e32 v127, -0.5, v237
	v_add_f32_e32 v141, v225, v141
	v_fma_f32 v145, -0.5, v238, v121
	v_add_f32_e32 v232, v248, v147
	v_sub_f32_e32 v147, v142, v216
	v_fmac_f32_e32 v121, -0.5, v146
	v_add_f32_e32 v146, v224, v140
	v_add_f32_e32 v230, v144, v218
	v_sub_f32_e32 v218, v217, v143
	v_fma_f32 v144, -0.5, v246, v120
	v_add_f32_e32 v235, v139, v123
	v_fma_f32 v120, -0.5, v254, v120
	v_fmamk_f32 v122, v219, 0xbf737871, v134
	v_fmamk_f32 v123, v220, 0x3f737871, v135
	;; [unrolled: 1-line block ×3, first 2 shown]
	v_fmac_f32_e32 v124, 0xbf737871, v226
	v_fmamk_f32 v140, v227, 0xbf737871, v125
	v_fmac_f32_e32 v125, 0x3f737871, v227
	v_fmac_f32_e32 v134, 0x3f737871, v219
	;; [unrolled: 1-line block ×3, first 2 shown]
	v_add_f32_e32 v224, v244, v142
	v_add_f32_e32 v131, v141, v131
	v_fmamk_f32 v141, v240, 0x3f737871, v126
	v_fmac_f32_e32 v126, 0xbf737871, v240
	v_fmamk_f32 v142, v242, 0xbf737871, v127
	v_fmac_f32_e32 v127, 0x3f737871, v242
	v_add_f32_e32 v234, v234, v147
	v_add_f32_e32 v130, v146, v130
	v_fmamk_f32 v146, v241, 0xbf737871, v136
	v_fmamk_f32 v147, v243, 0x3f737871, v137
	v_add_f32_e32 v233, v250, v218
	v_fmac_f32_e32 v136, 0x3f737871, v241
	v_fmac_f32_e32 v137, 0xbf737871, v243
	;; [unrolled: 1-line block ×4, first 2 shown]
	v_fmamk_f32 v218, v253, 0xbf737871, v144
	v_fmamk_f32 v219, v255, 0x3f737871, v145
	v_fmac_f32_e32 v122, 0xbf167918, v226
	v_fmac_f32_e32 v140, 0x3f167918, v220
	;; [unrolled: 1-line block ×3, first 2 shown]
	v_fmamk_f32 v221, v249, 0xbf737871, v121
	v_fmac_f32_e32 v121, 0x3f737871, v249
	v_fmamk_f32 v220, v247, 0x3f737871, v120
	v_fmac_f32_e32 v120, 0xbf737871, v247
	v_fmac_f32_e32 v144, 0x3f737871, v253
	;; [unrolled: 1-line block ×12, first 2 shown]
	v_add_f32_e32 v143, v245, v143
	v_add_f32_e32 v128, v251, v128
	;; [unrolled: 1-line block ×3, first 2 shown]
	v_fmac_f32_e32 v136, 0x3f167918, v240
	v_fmac_f32_e32 v137, 0xbf167918, v242
	;; [unrolled: 1-line block ×24, first 2 shown]
	v_mad_u64_u32 v[132:133], null, s0, v182, 0
	v_add_f32_e32 v216, v224, v216
	v_add_f32_e32 v217, v143, v217
	v_fmac_f32_e32 v136, 0x3e9e377a, v230
	v_fmac_f32_e32 v137, 0x3e9e377a, v231
	;; [unrolled: 1-line block ×10, first 2 shown]
	ds_write2_b64 v183, v[128:129], v[122:123] offset1:1
	ds_write2_b64 v183, v[139:140], v[124:125] offset0:2 offset1:3
	ds_write_b64 v183, v[134:135] offset:32
	ds_write2_b64 v199, v[141:142], v[126:127] offset0:2 offset1:3
	ds_write2_b64 v199, v[130:131], v[146:147] offset1:1
	ds_write_b64 v199, v[136:137] offset:32
	ds_write2_b64 v196, v[216:217], v[218:219] offset1:1
	ds_write_b64 v196, v[144:145] offset:32
	ds_write2_b64 v196, v[220:221], v[120:121] offset0:2 offset1:3
	v_mad_u64_u32 v[134:135], null, s3, v190, v[138:139]
	s_waitcnt lgkmcnt(0)
	s_barrier
	buffer_gl0_inv
	ds_read_b64 v[145:146], v181 offset:27216
	ds_read2_b64 v[120:123], v187 offset0:8 offset1:251
	ds_read2_b64 v[124:127], v186 offset0:4 offset1:247
	;; [unrolled: 1-line block ×3, first 2 shown]
	v_mad_u64_u32 v[182:183], null, s1, v182, v[133:134]
	v_mov_b32_e32 v180, v134
	ds_read2_b64 v[133:136], v184 offset0:6 offset1:249
	ds_read2_b64 v[137:140], v185 offset0:12 offset1:255
	ds_read2_b64 v[141:144], v181 offset1:243
	ds_read2_b64 v[216:219], v189 offset0:6 offset1:249
	s_waitcnt lgkmcnt(0)
	s_barrier
	buffer_gl0_inv
	s_mul_hi_u32 s3, s0, 0x16c8
	s_mulk_i32 s1, 0xac78
	s_add_i32 s3, s3, s6
	v_mul_f32_e32 v147, v79, v146
	v_mul_f32_e32 v79, v79, v145
	;; [unrolled: 1-line block ×20, first 2 shown]
	v_fma_f32 v61, v60, v140, -v61
	v_fma_f32 v63, v62, v134, -v63
	v_fmac_f32_e32 v223, v60, v139
	v_fmac_f32_e32 v222, v62, v133
	;; [unrolled: 1-line block ×3, first 2 shown]
	v_fma_f32 v64, v64, v129, -v65
	v_fmac_f32_e32 v221, v66, v135
	v_fma_f32 v65, v66, v136, -v67
	v_fmac_f32_e32 v196, v70, v124
	;; [unrolled: 2-line block ×7, first 2 shown]
	v_fma_f32 v73, v74, v127, -v75
	v_add_f32_e32 v60, v142, v61
	v_add_f32_e32 v66, v61, v63
	;; [unrolled: 1-line block ×8, first 2 shown]
	v_sub_f32_e32 v122, v68, v70
	v_add_f32_e32 v123, v68, v70
	v_add_f32_e32 v68, v216, v199
	;; [unrolled: 1-line block ×3, first 2 shown]
	v_sub_f32_e32 v77, v61, v63
	v_sub_f32_e32 v79, v223, v222
	v_add_f32_e32 v126, v219, v72
	v_sub_f32_e32 v127, v72, v73
	v_add_f32_e32 v72, v72, v73
	v_add_f32_e32 v129, v183, v190
	;; [unrolled: 1-line block ×3, first 2 shown]
	v_sub_f32_e32 v133, v76, v78
	v_add_f32_e32 v76, v76, v78
	v_add_f32_e32 v135, v178, v147
	;; [unrolled: 1-line block ×4, first 2 shown]
	v_fma_f32 v62, -0.5, v67, v141
	v_fma_f32 v63, -0.5, v66, v142
	v_sub_f32_e32 v120, v64, v65
	v_add_f32_e32 v64, v143, v220
	v_sub_f32_e32 v121, v220, v221
	v_fma_f32 v143, -0.5, v74, v143
	v_fmac_f32_e32 v144, -0.5, v71
	v_sub_f32_e32 v125, v199, v196
	v_add_f32_e32 v134, v137, v178
	v_add_f32_e32 v65, v69, v65
	;; [unrolled: 1-line block ×3, first 2 shown]
	v_fma_f32 v68, -0.5, v124, v216
	v_fma_f32 v69, -0.5, v123, v217
	v_add_f32_e32 v128, v218, v183
	v_sub_f32_e32 v130, v183, v190
	v_sub_f32_e32 v136, v178, v147
	v_add_f32_e32 v67, v75, v70
	v_fma_f32 v218, -0.5, v129, v218
	v_fmac_f32_e32 v219, -0.5, v72
	v_fma_f32 v137, -0.5, v135, v137
	v_fmac_f32_e32 v138, -0.5, v76
	v_fmamk_f32 v74, v77, 0xbf5db3d7, v62
	v_fmamk_f32 v75, v79, 0x3f5db3d7, v63
	v_fmac_f32_e32 v62, 0x3f5db3d7, v77
	v_fmac_f32_e32 v63, 0xbf5db3d7, v79
	v_add_f32_e32 v64, v64, v221
	v_fmamk_f32 v76, v120, 0xbf5db3d7, v143
	v_fmamk_f32 v77, v121, 0x3f5db3d7, v144
	v_fmac_f32_e32 v143, 0x3f5db3d7, v120
	v_fmac_f32_e32 v144, 0xbf5db3d7, v121
	v_add_f32_e32 v71, v126, v73
	v_add_f32_e32 v73, v131, v78
	v_add_f32_e32 v72, v134, v147
	v_fmamk_f32 v78, v122, 0xbf5db3d7, v68
	v_fmamk_f32 v79, v125, 0x3f5db3d7, v69
	v_add_f32_e32 v70, v128, v190
	v_fmac_f32_e32 v68, 0x3f5db3d7, v122
	v_fmac_f32_e32 v69, 0xbf5db3d7, v125
	v_fmamk_f32 v120, v127, 0xbf5db3d7, v218
	v_fmamk_f32 v121, v130, 0x3f5db3d7, v219
	v_fmac_f32_e32 v218, 0x3f5db3d7, v127
	v_fmac_f32_e32 v219, 0xbf5db3d7, v130
	v_fmamk_f32 v122, v133, 0xbf5db3d7, v137
	v_fmamk_f32 v123, v136, 0x3f5db3d7, v138
	v_fmac_f32_e32 v137, 0x3f5db3d7, v133
	v_fmac_f32_e32 v138, 0xbf5db3d7, v136
	ds_write2_b64 v202, v[60:61], v[74:75] offset1:5
	ds_write_b64 v202, v[62:63] offset:80
	ds_write2_b64 v206, v[64:65], v[76:77] offset1:5
	ds_write_b64 v206, v[143:144] offset:80
	;; [unrolled: 2-line block ×5, first 2 shown]
	v_lshlrev_b64 v[72:73], 3, v[179:180]
	v_mov_b32_e32 v133, v182
	s_waitcnt lgkmcnt(0)
	s_barrier
	buffer_gl0_inv
	ds_read2_b64 v[64:67], v186 offset0:4 offset1:247
	v_lshlrev_b64 v[130:131], 3, v[132:133]
	ds_read2_b64 v[68:71], v188 offset0:2 offset1:245
	v_add_co_u32 v132, vcc_lo, s4, v72
	ds_read_b64 v[128:129], v181 offset:27216
	ds_read2_b64 v[60:63], v187 offset0:8 offset1:251
	v_add_co_ci_u32_e32 v133, vcc_lo, s5, v73, vcc_lo
	ds_read2_b64 v[72:75], v184 offset0:6 offset1:249
	ds_read2_b64 v[76:79], v185 offset0:12 offset1:255
	ds_read2_b64 v[120:123], v181 offset1:243
	ds_read2_b64 v[124:127], v189 offset0:6 offset1:249
	s_waitcnt lgkmcnt(0)
	s_barrier
	buffer_gl0_inv
	s_sub_i32 s4, s1, s0
	v_mul_f32_e32 v138, v11, v65
	v_mul_f32_e32 v11, v11, v64
	;; [unrolled: 1-line block ×18, first 2 shown]
	v_fmac_f32_e32 v138, v10, v64
	v_fma_f32 v10, v10, v65, -v11
	v_fmac_f32_e32 v139, v8, v70
	v_fma_f32 v8, v8, v71, -v9
	;; [unrolled: 2-line block ×4, first 2 shown]
	v_fma_f32 v9, v2, v73, -v142
	v_fma_f32 v6, v6, v75, -v7
	v_fmac_f32_e32 v1, v0, v78
	v_fmac_f32_e32 v3, v2, v72
	v_mul_f32_e32 v134, v19, v129
	v_mul_f32_e32 v19, v19, v128
	v_fmac_f32_e32 v135, v16, v62
	v_fma_f32 v16, v16, v63, -v17
	v_fmac_f32_e32 v136, v12, v60
	v_fma_f32 v12, v12, v61, -v13
	;; [unrolled: 2-line block ×3, first 2 shown]
	v_add_f32_e32 v0, v121, v5
	v_sub_f32_e32 v17, v5, v9
	v_add_f32_e32 v11, v5, v9
	v_add_f32_e32 v2, v120, v1
	;; [unrolled: 1-line block ×4, first 2 shown]
	v_sub_f32_e32 v60, v4, v6
	v_add_f32_e32 v15, v4, v6
	v_add_f32_e32 v4, v122, v140
	;; [unrolled: 1-line block ×3, first 2 shown]
	v_sub_f32_e32 v63, v8, v10
	v_add_f32_e32 v64, v8, v10
	v_add_f32_e32 v8, v124, v139
	v_fmac_f32_e32 v134, v18, v128
	v_fma_f32 v18, v18, v129, -v19
	v_add_f32_e32 v61, v140, v141
	v_add_f32_e32 v65, v139, v138
	v_sub_f32_e32 v19, v1, v3
	v_add_f32_e32 v67, v127, v12
	v_sub_f32_e32 v68, v12, v13
	v_add_f32_e32 v12, v12, v13
	v_add_f32_e32 v70, v136, v137
	;; [unrolled: 1-line block ×6, first 2 shown]
	v_fma_f32 v8, -0.5, v14, v120
	v_fma_f32 v9, -0.5, v11, v121
	v_sub_f32_e32 v62, v140, v141
	v_add_f32_e32 v72, v77, v16
	v_sub_f32_e32 v73, v16, v18
	v_add_f32_e32 v16, v16, v18
	v_fma_f32 v122, -0.5, v61, v122
	v_fmac_f32_e32 v123, -0.5, v15
	v_sub_f32_e32 v66, v139, v138
	v_add_f32_e32 v3, v5, v6
	v_add_f32_e32 v5, v7, v10
	v_fma_f32 v10, -0.5, v65, v124
	v_fma_f32 v11, -0.5, v64, v125
	v_add_f32_e32 v69, v126, v136
	v_sub_f32_e32 v71, v136, v137
	v_fma_f32 v126, -0.5, v70, v126
	v_fmac_f32_e32 v127, -0.5, v12
	v_fmamk_f32 v14, v17, 0xbf5db3d7, v8
	v_fmamk_f32 v15, v19, 0x3f5db3d7, v9
	v_fmac_f32_e32 v8, 0x3f5db3d7, v17
	v_fmac_f32_e32 v9, 0xbf5db3d7, v19
	v_fmac_f32_e32 v77, -0.5, v16
	v_fmamk_f32 v16, v60, 0xbf5db3d7, v122
	v_fmamk_f32 v17, v62, 0x3f5db3d7, v123
	v_fmac_f32_e32 v122, 0x3f5db3d7, v60
	v_fmac_f32_e32 v123, 0xbf5db3d7, v62
	v_add_f32_e32 v7, v67, v13
	v_add_f32_e32 v13, v72, v18
	v_fmamk_f32 v18, v63, 0xbf5db3d7, v10
	v_fmamk_f32 v19, v66, 0x3f5db3d7, v11
	v_add_f32_e32 v6, v69, v137
	v_fmac_f32_e32 v10, 0x3f5db3d7, v63
	v_fmac_f32_e32 v11, 0xbf5db3d7, v66
	v_fmamk_f32 v60, v68, 0xbf5db3d7, v126
	v_fmamk_f32 v61, v71, 0x3f5db3d7, v127
	v_fmac_f32_e32 v126, 0x3f5db3d7, v68
	v_fmac_f32_e32 v127, 0xbf5db3d7, v71
	ds_write2_b64 v191, v[0:1], v[14:15] offset1:15
	ds_write_b64 v191, v[8:9] offset:240
	ds_write2_b64 v194, v[2:3], v[16:17] offset1:15
	ds_write_b64 v194, v[122:123] offset:240
	;; [unrolled: 2-line block ×4, first 2 shown]
	buffer_load_dword v0, off, s[20:23], 0  ; 4-byte Folded Reload
	v_add_f32_e32 v75, v135, v134
	v_add_f32_e32 v74, v76, v135
	v_sub_f32_e32 v78, v135, v134
	v_fma_f32 v76, -0.5, v75, v76
	v_add_f32_e32 v12, v74, v134
	v_fmamk_f32 v63, v78, 0x3f5db3d7, v77
	v_fmac_f32_e32 v77, 0xbf5db3d7, v78
	v_fmamk_f32 v62, v73, 0xbf5db3d7, v76
	v_fmac_f32_e32 v76, 0x3f5db3d7, v73
	s_waitcnt vmcnt(0)
	ds_write2_b64 v0, v[12:13], v[62:63] offset1:15
	ds_write_b64 v0, v[76:77] offset:240
	s_waitcnt lgkmcnt(0)
	s_barrier
	buffer_gl0_inv
	ds_read_b64 v[18:19], v181 offset:27216
	ds_read2_b64 v[6:9], v187 offset0:8 offset1:251
	ds_read2_b64 v[10:13], v186 offset0:4 offset1:247
	;; [unrolled: 1-line block ×5, first 2 shown]
	ds_read2_b64 v[68:71], v181 offset1:243
	ds_read2_b64 v[72:75], v189 offset0:6 offset1:249
	s_waitcnt lgkmcnt(0)
	s_barrier
	buffer_gl0_inv
	v_add_co_u32 v0, vcc_lo, v132, v130
	v_add_co_ci_u32_e32 v1, vcc_lo, v133, v131, vcc_lo
	v_add_co_u32 v2, vcc_lo, v0, s2
	v_add_co_ci_u32_e32 v3, vcc_lo, s3, v1, vcc_lo
	;; [unrolled: 2-line block ×3, first 2 shown]
	v_mul_f32_e32 v79, v35, v13
	v_mul_f32_e32 v120, v31, v11
	;; [unrolled: 1-line block ×20, first 2 shown]
	v_fmac_f32_e32 v79, v34, v12
	v_fmac_f32_e32 v120, v30, v10
	v_fma_f32 v12, v30, v11, -v31
	v_fma_f32 v10, v20, v67, -v21
	;; [unrolled: 1-line block ×3, first 2 shown]
	v_fmac_f32_e32 v125, v20, v66
	v_fmac_f32_e32 v124, v22, v60
	;; [unrolled: 1-line block ×3, first 2 shown]
	v_fma_f32 v18, v38, v19, -v39
	v_fmac_f32_e32 v77, v36, v8
	v_fma_f32 v8, v36, v9, -v37
	v_fma_f32 v19, v34, v13, -v35
	v_fmac_f32_e32 v122, v24, v14
	v_fma_f32 v9, v24, v15, -v25
	v_fmac_f32_e32 v123, v26, v62
	v_fma_f32 v13, v26, v63, -v27
	v_fmac_f32_e32 v78, v32, v6
	v_fma_f32 v6, v32, v7, -v33
	v_fmac_f32_e32 v121, v28, v16
	v_fma_f32 v7, v28, v17, -v29
	v_add_f32_e32 v14, v69, v10
	v_sub_f32_e32 v22, v10, v11
	v_add_f32_e32 v10, v10, v11
	v_add_f32_e32 v16, v125, v124
	;; [unrolled: 1-line block ×7, first 2 shown]
	v_sub_f32_e32 v23, v125, v124
	v_add_f32_e32 v17, v71, v9
	v_sub_f32_e32 v24, v9, v13
	v_add_f32_e32 v21, v70, v122
	v_add_f32_e32 v35, v6, v19
	;; [unrolled: 1-line block ×4, first 2 shown]
	v_sub_f32_e32 v60, v8, v18
	v_add_f32_e32 v61, v8, v18
	v_add_f32_e32 v63, v77, v76
	v_fma_f32 v8, -0.5, v16, v68
	v_fma_f32 v9, -0.5, v10, v69
	v_sub_f32_e32 v26, v122, v123
	v_fma_f32 v70, -0.5, v25, v70
	v_fmac_f32_e32 v71, -0.5, v20
	v_add_f32_e32 v27, v73, v7
	v_sub_f32_e32 v28, v7, v12
	v_add_f32_e32 v30, v72, v121
	v_sub_f32_e32 v32, v121, v120
	;; [unrolled: 2-line block ×3, first 2 shown]
	v_add_f32_e32 v7, v14, v11
	v_add_f32_e32 v6, v15, v124
	v_fma_f32 v14, -0.5, v31, v72
	v_fma_f32 v15, -0.5, v29, v73
	v_add_f32_e32 v36, v74, v78
	v_sub_f32_e32 v38, v78, v79
	v_add_f32_e32 v62, v64, v77
	v_sub_f32_e32 v66, v77, v76
	v_add_f32_e32 v10, v21, v123
	v_fma_f32 v74, -0.5, v37, v74
	v_fmac_f32_e32 v75, -0.5, v35
	v_fma_f32 v64, -0.5, v63, v64
	v_fmac_f32_e32 v65, -0.5, v61
	v_fmamk_f32 v20, v22, 0xbf5db3d7, v8
	v_fmamk_f32 v21, v23, 0x3f5db3d7, v9
	v_fmac_f32_e32 v8, 0x3f5db3d7, v22
	v_fmac_f32_e32 v9, 0xbf5db3d7, v23
	v_add_f32_e32 v11, v17, v13
	v_fmamk_f32 v22, v24, 0xbf5db3d7, v70
	v_fmamk_f32 v23, v26, 0x3f5db3d7, v71
	v_fmac_f32_e32 v70, 0x3f5db3d7, v24
	v_fmac_f32_e32 v71, 0xbf5db3d7, v26
	v_add_f32_e32 v13, v27, v12
	v_add_f32_e32 v12, v30, v120
	v_fmamk_f32 v24, v28, 0xbf5db3d7, v14
	v_fmamk_f32 v25, v32, 0x3f5db3d7, v15
	v_fmac_f32_e32 v14, 0x3f5db3d7, v28
	v_fmac_f32_e32 v15, 0xbf5db3d7, v32
	v_add_f32_e32 v17, v33, v19
	v_add_f32_e32 v16, v36, v79
	;; [unrolled: 1-line block ×4, first 2 shown]
	v_fmamk_f32 v26, v34, 0xbf5db3d7, v74
	v_fmamk_f32 v27, v38, 0x3f5db3d7, v75
	v_fmac_f32_e32 v74, 0x3f5db3d7, v34
	v_fmac_f32_e32 v75, 0xbf5db3d7, v38
	v_fmamk_f32 v28, v60, 0xbf5db3d7, v64
	v_fmac_f32_e32 v64, 0x3f5db3d7, v60
	v_fmamk_f32 v29, v66, 0x3f5db3d7, v65
	v_fmac_f32_e32 v65, 0xbf5db3d7, v66
	ds_write2_b64 v201, v[6:7], v[20:21] offset1:45
	ds_write_b64 v201, v[8:9] offset:720
	ds_write2_b64 v200, v[10:11], v[22:23] offset1:45
	ds_write_b64 v200, v[70:71] offset:720
	;; [unrolled: 2-line block ×5, first 2 shown]
	s_waitcnt lgkmcnt(0)
	s_barrier
	buffer_gl0_inv
	ds_read2_b64 v[12:15], v185 offset0:12 offset1:255
	ds_read2_b64 v[16:19], v184 offset0:6 offset1:249
	ds_read2_b64 v[20:23], v188 offset0:2 offset1:245
	ds_read2_b64 v[24:27], v186 offset0:4 offset1:247
	ds_read2_b64 v[28:31], v187 offset0:8 offset1:251
	ds_read_b64 v[60:61], v181 offset:27216
	ds_read2_b64 v[32:35], v181 offset1:243
	ds_read2_b64 v[36:39], v189 offset0:6 offset1:249
	s_waitcnt lgkmcnt(0)
	s_barrier
	buffer_gl0_inv
	v_add_co_u32 v6, vcc_lo, v4, s2
	v_add_co_ci_u32_e32 v7, vcc_lo, s3, v5, vcc_lo
	v_add_co_u32 v8, vcc_lo, v6, s2
	v_add_co_ci_u32_e32 v9, vcc_lo, s3, v7, vcc_lo
	v_mad_u64_u32 v[10:11], null, 0xffffac78, s0, v[8:9]
	v_mul_f32_e32 v62, v57, v15
	v_mul_f32_e32 v57, v57, v14
	;; [unrolled: 1-line block ×20, first 2 shown]
	v_fmac_f32_e32 v62, v56, v14
	v_fma_f32 v14, v56, v15, -v57
	v_fmac_f32_e32 v63, v58, v16
	v_fma_f32 v17, v58, v17, -v59
	v_fmac_f32_e32 v64, v54, v18
	v_fma_f32 v19, v54, v19, -v55
	v_fmac_f32_e32 v65, v52, v20
	v_fma_f32 v15, v52, v21, -v53
	v_fmac_f32_e32 v66, v48, v22
	v_fma_f32 v16, v48, v23, -v49
	v_fmac_f32_e32 v67, v50, v24
	v_fma_f32 v20, v50, v25, -v51
	v_fmac_f32_e32 v68, v46, v26
	v_fma_f32 v22, v46, v27, -v47
	v_fmac_f32_e32 v69, v44, v28
	v_fma_f32 v18, v44, v29, -v45
	v_fmac_f32_e32 v70, v40, v30
	v_fma_f32 v21, v40, v31, -v41
	v_fmac_f32_e32 v71, v42, v60
	v_fma_f32 v27, v42, v61, -v43
	v_add_f32_e32 v24, v62, v63
	v_add_f32_e32 v25, v14, v17
	;; [unrolled: 1-line block ×7, first 2 shown]
	v_sub_f32_e32 v30, v14, v17
	v_add_f32_e32 v26, v33, v14
	v_sub_f32_e32 v31, v62, v63
	v_add_f32_e32 v41, v35, v15
	;; [unrolled: 2-line block ×3, first 2 shown]
	v_add_f32_e32 v54, v69, v68
	v_add_f32_e32 v56, v70, v71
	;; [unrolled: 1-line block ×3, first 2 shown]
	v_fma_f32 v14, -0.5, v24, v32
	v_fma_f32 v15, -0.5, v25, v33
	v_add_f32_e32 v40, v34, v65
	v_sub_f32_e32 v43, v65, v64
	v_fma_f32 v34, -0.5, v28, v34
	v_fmac_f32_e32 v35, -0.5, v29
	v_add_f32_e32 v44, v36, v66
	v_add_f32_e32 v45, v37, v16
	v_sub_f32_e32 v47, v16, v20
	v_sub_f32_e32 v51, v66, v67
	v_fma_f32 v24, -0.5, v46, v36
	v_fma_f32 v25, -0.5, v48, v37
	v_add_f32_e32 v49, v39, v18
	v_add_f32_e32 v50, v38, v69
	v_sub_f32_e32 v52, v18, v22
	v_sub_f32_e32 v55, v69, v68
	v_add_f32_e32 v57, v12, v70
	v_add_f32_e32 v58, v13, v21
	v_sub_f32_e32 v59, v21, v27
	v_sub_f32_e32 v61, v70, v71
	v_add_f32_e32 v16, v23, v63
	v_add_f32_e32 v17, v26, v17
	v_fma_f32 v38, -0.5, v54, v38
	v_fmac_f32_e32 v39, -0.5, v53
	v_fma_f32 v12, -0.5, v56, v12
	v_fmac_f32_e32 v13, -0.5, v60
	v_fmamk_f32 v28, v30, 0xbf5db3d7, v14
	v_fmamk_f32 v29, v31, 0x3f5db3d7, v15
	v_fmac_f32_e32 v14, 0x3f5db3d7, v30
	v_fmac_f32_e32 v15, 0xbf5db3d7, v31
	v_add_f32_e32 v18, v40, v64
	v_add_f32_e32 v19, v41, v19
	v_fmamk_f32 v30, v42, 0xbf5db3d7, v34
	v_fmamk_f32 v31, v43, 0x3f5db3d7, v35
	v_fmac_f32_e32 v34, 0x3f5db3d7, v42
	v_fmac_f32_e32 v35, 0xbf5db3d7, v43
	v_add_f32_e32 v21, v45, v20
	v_add_f32_e32 v20, v44, v67
	v_fmamk_f32 v32, v47, 0xbf5db3d7, v24
	v_fmamk_f32 v33, v51, 0x3f5db3d7, v25
	v_add_f32_e32 v23, v49, v22
	v_add_f32_e32 v22, v50, v68
	;; [unrolled: 1-line block ×4, first 2 shown]
	v_fmac_f32_e32 v24, 0x3f5db3d7, v47
	v_fmac_f32_e32 v25, 0xbf5db3d7, v51
	v_fmamk_f32 v36, v52, 0xbf5db3d7, v38
	v_fmac_f32_e32 v38, 0x3f5db3d7, v52
	v_fmamk_f32 v37, v55, 0x3f5db3d7, v39
	;; [unrolled: 2-line block ×4, first 2 shown]
	v_fmac_f32_e32 v13, 0xbf5db3d7, v61
	ds_write2_b64 v207, v[16:17], v[28:29] offset1:135
	ds_write_b64 v207, v[14:15] offset:2160
	ds_write2_b64 v209, v[18:19], v[30:31] offset1:135
	ds_write_b64 v209, v[34:35] offset:2160
	;; [unrolled: 2-line block ×5, first 2 shown]
	s_waitcnt lgkmcnt(0)
	s_barrier
	buffer_gl0_inv
	ds_read2_b64 v[16:19], v185 offset0:12 offset1:255
	ds_read2_b64 v[20:23], v184 offset0:6 offset1:249
	;; [unrolled: 1-line block ×5, first 2 shown]
	ds_read_b64 v[44:45], v181 offset:27216
	ds_read2_b64 v[36:39], v181 offset1:243
	ds_read2_b64 v[40:43], v189 offset0:6 offset1:249
	s_waitcnt lgkmcnt(0)
	s_barrier
	buffer_gl0_inv
	v_add_nc_u32_e32 v11, s4, v11
	v_add_co_u32 v12, vcc_lo, v10, s2
	v_add_co_ci_u32_e32 v13, vcc_lo, s3, v11, vcc_lo
	v_add_co_u32 v14, vcc_lo, v12, s2
	v_add_co_ci_u32_e32 v15, vcc_lo, s3, v13, vcc_lo
	v_mul_f32_e32 v46, v97, v19
	v_mul_f32_e32 v47, v97, v18
	;; [unrolled: 1-line block ×20, first 2 shown]
	v_fmac_f32_e32 v46, v96, v18
	v_fma_f32 v18, v96, v19, -v47
	v_fmac_f32_e32 v48, v98, v20
	v_fma_f32 v19, v98, v21, -v49
	;; [unrolled: 2-line block ×10, first 2 shown]
	v_add_f32_e32 v27, v46, v48
	v_add_f32_e32 v30, v18, v19
	;; [unrolled: 1-line block ×3, first 2 shown]
	v_sub_f32_e32 v34, v46, v48
	v_add_f32_e32 v35, v52, v50
	v_add_f32_e32 v46, v20, v21
	;; [unrolled: 1-line block ×9, first 2 shown]
	v_sub_f32_e32 v33, v18, v19
	v_add_f32_e32 v32, v38, v52
	v_sub_f32_e32 v47, v52, v50
	v_sub_f32_e32 v52, v22, v25
	v_add_f32_e32 v53, v41, v22
	v_sub_f32_e32 v61, v23, v29
	v_add_f32_e32 v63, v43, v23
	v_fma_f32 v22, -0.5, v27, v36
	v_fma_f32 v23, -0.5, v30, v37
	v_add_f32_e32 v45, v39, v20
	v_sub_f32_e32 v44, v20, v21
	v_add_f32_e32 v49, v40, v54
	v_sub_f32_e32 v54, v54, v56
	v_add_f32_e32 v57, v42, v60
	v_add_f32_e32 v66, v16, v62
	;; [unrolled: 1-line block ×4, first 2 shown]
	v_fma_f32 v38, -0.5, v35, v38
	v_fmac_f32_e32 v39, -0.5, v46
	v_fma_f32 v26, -0.5, v51, v40
	v_fma_f32 v27, -0.5, v55, v41
	v_sub_f32_e32 v60, v60, v58
	v_sub_f32_e32 v68, v24, v31
	v_sub_f32_e32 v62, v62, v64
	v_add_f32_e32 v19, v28, v19
	v_fma_f32 v42, -0.5, v59, v42
	v_fmac_f32_e32 v43, -0.5, v65
	v_fma_f32 v16, -0.5, v67, v16
	v_fmac_f32_e32 v17, -0.5, v70
	v_add_f32_e32 v20, v32, v50
	v_fmamk_f32 v32, v33, 0xbf5db3d7, v22
	v_fmac_f32_e32 v22, 0x3f5db3d7, v33
	v_fmamk_f32 v33, v34, 0x3f5db3d7, v23
	v_fmac_f32_e32 v23, 0xbf5db3d7, v34
	v_add_f32_e32 v21, v45, v21
	v_add_f32_e32 v24, v49, v56
	;; [unrolled: 1-line block ×7, first 2 shown]
	v_fmamk_f32 v34, v44, 0xbf5db3d7, v38
	v_fmamk_f32 v35, v47, 0x3f5db3d7, v39
	;; [unrolled: 1-line block ×3, first 2 shown]
	v_fmac_f32_e32 v26, 0x3f5db3d7, v52
	v_fmamk_f32 v37, v54, 0x3f5db3d7, v27
	v_fmac_f32_e32 v27, 0xbf5db3d7, v54
	v_fmac_f32_e32 v38, 0x3f5db3d7, v44
	;; [unrolled: 1-line block ×3, first 2 shown]
	v_fmamk_f32 v40, v61, 0xbf5db3d7, v42
	v_fmac_f32_e32 v42, 0x3f5db3d7, v61
	v_fmamk_f32 v41, v60, 0x3f5db3d7, v43
	v_fmac_f32_e32 v43, 0xbf5db3d7, v60
	;; [unrolled: 2-line block ×4, first 2 shown]
	ds_write_b64 v181, v[18:19]
	ds_write_b64 v181, v[32:33] offset:3240
	ds_write_b64 v181, v[22:23] offset:6480
	ds_write_b64 v213, v[20:21]
	ds_write_b64 v213, v[34:35] offset:3240
	ds_write_b64 v213, v[38:39] offset:6480
	ds_write_b64 v181, v[24:25] offset:10368
	ds_write_b64 v181, v[36:37] offset:13608
	ds_write_b64 v181, v[26:27] offset:16848
	ds_write_b64 v215, v[28:29]
	ds_write_b64 v215, v[40:41] offset:3240
	ds_write_b64 v215, v[42:43] offset:6480
	;; [unrolled: 1-line block ×5, first 2 shown]
	s_waitcnt lgkmcnt(0)
	s_barrier
	buffer_gl0_inv
	ds_read2_b64 v[22:25], v185 offset0:12 offset1:255
	ds_read2_b64 v[26:29], v184 offset0:6 offset1:249
	;; [unrolled: 1-line block ×5, first 2 shown]
	ds_read2_b64 v[42:45], v181 offset1:243
	ds_read_b64 v[50:51], v181 offset:27216
	ds_read2_b64 v[46:49], v189 offset0:6 offset1:249
	v_add_co_u32 v16, vcc_lo, v14, s2
	v_add_co_ci_u32_e32 v17, vcc_lo, s3, v15, vcc_lo
	v_add_co_u32 v18, vcc_lo, v16, s2
	v_add_co_ci_u32_e32 v19, vcc_lo, s3, v17, vcc_lo
	v_mad_u64_u32 v[20:21], null, 0xffffac78, s0, v[18:19]
	s_waitcnt lgkmcnt(7)
	v_mul_f32_e32 v52, v117, v25
	v_mul_f32_e32 v53, v117, v24
	s_waitcnt lgkmcnt(6)
	v_mul_f32_e32 v54, v119, v27
	v_mul_f32_e32 v55, v119, v26
	;; [unrolled: 3-line block ×3, first 2 shown]
	v_mul_f32_e32 v58, v115, v29
	v_mul_f32_e32 v59, v115, v28
	;; [unrolled: 1-line block ×4, first 2 shown]
	s_waitcnt lgkmcnt(4)
	v_mul_f32_e32 v62, v103, v35
	v_mul_f32_e32 v63, v103, v34
	;; [unrolled: 1-line block ×3, first 2 shown]
	s_waitcnt lgkmcnt(3)
	v_mul_f32_e32 v68, v109, v41
	v_mul_f32_e32 v69, v109, v40
	s_waitcnt lgkmcnt(1)
	v_mul_f32_e32 v70, v111, v51
	v_mul_f32_e32 v71, v111, v50
	;; [unrolled: 1-line block ×5, first 2 shown]
	v_fmac_f32_e32 v52, v116, v24
	v_fma_f32 v24, v116, v25, -v53
	v_fmac_f32_e32 v54, v118, v26
	v_fma_f32 v25, v118, v27, -v55
	;; [unrolled: 2-line block ×6, first 2 shown]
	v_fma_f32 v35, v106, v37, -v67
	v_fmac_f32_e32 v68, v108, v40
	v_fma_f32 v30, v108, v41, -v69
	v_fmac_f32_e32 v70, v110, v50
	;; [unrolled: 2-line block ×4, first 2 shown]
	v_add_f32_e32 v33, v52, v54
	v_add_f32_e32 v36, v24, v25
	;; [unrolled: 1-line block ×3, first 2 shown]
	v_sub_f32_e32 v40, v52, v54
	v_add_f32_e32 v38, v44, v56
	v_add_f32_e32 v41, v56, v58
	;; [unrolled: 1-line block ×3, first 2 shown]
	v_sub_f32_e32 v53, v56, v58
	v_add_f32_e32 v56, v60, v62
	v_add_f32_e32 v61, v27, v31
	v_add_f32_e32 v73, v68, v70
	v_add_f32_e32 v76, v30, v37
	v_sub_f32_e32 v39, v24, v25
	v_sub_f32_e32 v50, v26, v29
	v_add_f32_e32 v51, v45, v26
	v_sub_f32_e32 v57, v27, v31
	s_waitcnt lgkmcnt(0)
	v_add_f32_e32 v59, v47, v27
	v_add_f32_e32 v65, v64, v66
	;; [unrolled: 1-line block ×3, first 2 shown]
	v_fma_f32 v26, -0.5, v33, v42
	v_fma_f32 v27, -0.5, v36, v43
	v_add_f32_e32 v34, v43, v24
	v_add_f32_e32 v55, v46, v60
	v_sub_f32_e32 v60, v60, v62
	v_add_f32_e32 v24, v32, v54
	v_fma_f32 v44, -0.5, v41, v44
	v_fmac_f32_e32 v45, -0.5, v52
	v_fma_f32 v32, -0.5, v56, v46
	v_fma_f32 v33, -0.5, v61, v47
	v_add_f32_e32 v72, v22, v68
	v_sub_f32_e32 v74, v30, v37
	v_add_f32_e32 v75, v23, v30
	v_sub_f32_e32 v68, v68, v70
	v_fma_f32 v22, -0.5, v73, v22
	v_fmac_f32_e32 v23, -0.5, v76
	v_add_f32_e32 v63, v48, v64
	v_sub_f32_e32 v67, v28, v35
	v_add_f32_e32 v69, v49, v28
	v_sub_f32_e32 v64, v64, v66
	v_add_f32_e32 v28, v38, v58
	v_fma_f32 v48, -0.5, v65, v48
	v_fmac_f32_e32 v49, -0.5, v71
	v_fmamk_f32 v38, v39, 0xbf5db3d7, v26
	v_fmac_f32_e32 v26, 0x3f5db3d7, v39
	v_fmamk_f32 v39, v40, 0x3f5db3d7, v27
	v_fmac_f32_e32 v27, 0xbf5db3d7, v40
	v_add_f32_e32 v25, v34, v25
	v_add_f32_e32 v29, v51, v29
	v_fmamk_f32 v40, v50, 0xbf5db3d7, v44
	v_fmamk_f32 v41, v53, 0x3f5db3d7, v45
	;; [unrolled: 1-line block ×4, first 2 shown]
	v_add_f32_e32 v30, v55, v62
	v_add_f32_e32 v31, v59, v31
	v_fmac_f32_e32 v44, 0x3f5db3d7, v50
	v_fmac_f32_e32 v45, 0xbf5db3d7, v53
	;; [unrolled: 1-line block ×4, first 2 shown]
	v_fmamk_f32 v50, v74, 0xbf5db3d7, v22
	v_fmac_f32_e32 v22, 0x3f5db3d7, v74
	v_fmamk_f32 v51, v68, 0x3f5db3d7, v23
	v_fmac_f32_e32 v23, 0xbf5db3d7, v68
	v_add_f32_e32 v34, v63, v66
	v_add_f32_e32 v35, v69, v35
	;; [unrolled: 1-line block ×4, first 2 shown]
	v_fmamk_f32 v46, v67, 0xbf5db3d7, v48
	v_fmac_f32_e32 v48, 0x3f5db3d7, v67
	v_fmamk_f32 v47, v64, 0x3f5db3d7, v49
	v_fmac_f32_e32 v49, 0xbf5db3d7, v64
	ds_write_b64 v181, v[38:39] offset:9720
	ds_write_b64 v181, v[26:27] offset:19440
	ds_write2_b64 v181, v[24:25], v[28:29] offset1:243
	ds_write2_b64 v188, v[40:41], v[42:43] offset0:2 offset1:245
	ds_write2_b64 v212, v[44:45], v[32:33] offset0:1 offset1:244
	;; [unrolled: 1-line block ×3, first 2 shown]
	ds_write_b64 v181, v[48:49] offset:25272
	ds_write_b64 v181, v[36:37] offset:7776
	ds_write2_b64 v187, v[46:47], v[50:51] offset0:8 offset1:251
	ds_write_b64 v181, v[22:23] offset:27216
	s_waitcnt lgkmcnt(0)
	s_barrier
	buffer_gl0_inv
	ds_read2_b64 v[22:25], v181 offset1:243
	ds_read2_b64 v[26:29], v189 offset0:6 offset1:249
	ds_read2_b64 v[30:33], v188 offset0:2 offset1:245
	;; [unrolled: 1-line block ×6, first 2 shown]
	ds_read_b64 v[54:55], v181 offset:27216
	s_mov_b32 s0, 0x8098d3d3
	s_mov_b32 s1, 0x3f31facd
	v_add_nc_u32_e32 v21, s4, v21
	v_add_co_u32 v50, vcc_lo, v20, s2
	v_add_co_ci_u32_e32 v51, vcc_lo, s3, v21, vcc_lo
	v_add_co_u32 v52, vcc_lo, v50, s2
	v_add_co_ci_u32_e32 v53, vcc_lo, s3, v51, vcc_lo
	s_waitcnt lgkmcnt(7)
	v_mul_f32_e32 v56, v149, v23
	v_mul_f32_e32 v57, v149, v22
	s_waitcnt lgkmcnt(6)
	v_mul_f32_e32 v58, v153, v29
	v_mul_f32_e32 v59, v153, v28
	;; [unrolled: 3-line block ×5, first 2 shown]
	v_mul_f32_e32 v66, v151, v25
	v_mul_f32_e32 v67, v151, v24
	v_fmac_f32_e32 v56, v148, v22
	v_fma_f32 v57, v148, v23, -v57
	s_waitcnt lgkmcnt(2)
	v_mul_f32_e32 v68, v161, v43
	v_mul_f32_e32 v69, v161, v42
	s_waitcnt lgkmcnt(1)
	v_mul_f32_e32 v73, v173, v46
	v_mul_f32_e32 v76, v167, v27
	;; [unrolled: 1-line block ×3, first 2 shown]
	v_fmac_f32_e32 v58, v152, v28
	v_fma_f32 v28, v152, v29, -v59
	v_mul_f32_e32 v70, v163, v33
	v_mul_f32_e32 v71, v163, v32
	v_fmac_f32_e32 v60, v154, v30
	v_fma_f32 v59, v154, v31, -v61
	v_mul_f32_e32 v72, v173, v47
	v_mul_f32_e32 v80, v171, v35
	;; [unrolled: 1-line block ×3, first 2 shown]
	v_fmac_f32_e32 v62, v156, v36
	v_fma_f32 v36, v156, v37, -v63
	v_mul_f32_e32 v74, v165, v41
	v_mul_f32_e32 v75, v165, v40
	v_fmac_f32_e32 v64, v158, v38
	v_fma_f32 v61, v158, v39, -v65
	v_mul_f32_e32 v78, v169, v45
	v_mul_f32_e32 v79, v169, v44
	v_fmac_f32_e32 v66, v150, v24
	v_fma_f32 v63, v150, v25, -v67
	v_cvt_f64_f32_e32 v[22:23], v56
	v_cvt_f64_f32_e32 v[24:25], v57
	v_mul_f32_e32 v82, v175, v49
	v_mul_f32_e32 v83, v175, v48
	v_fmac_f32_e32 v68, v160, v42
	v_fma_f32 v65, v160, v43, -v69
	v_fma_f32 v69, v172, v47, -v73
	v_fmac_f32_e32 v76, v166, v26
	v_fma_f32 v73, v166, v27, -v77
	v_cvt_f64_f32_e32 v[26:27], v58
	v_cvt_f64_f32_e32 v[28:29], v28
	s_waitcnt lgkmcnt(0)
	v_mul_f32_e32 v84, v177, v55
	v_mul_f32_e32 v85, v177, v54
	v_fmac_f32_e32 v70, v162, v32
	v_fma_f32 v67, v162, v33, -v71
	v_cvt_f64_f32_e32 v[30:31], v60
	v_cvt_f64_f32_e32 v[32:33], v59
	v_fmac_f32_e32 v72, v172, v46
	v_fmac_f32_e32 v80, v170, v34
	v_fma_f32 v77, v170, v35, -v81
	v_cvt_f64_f32_e32 v[34:35], v62
	v_cvt_f64_f32_e32 v[36:37], v36
	v_fmac_f32_e32 v74, v164, v40
	v_fma_f32 v71, v164, v41, -v75
	v_cvt_f64_f32_e32 v[38:39], v64
	v_cvt_f64_f32_e32 v[40:41], v61
	;; [unrolled: 4-line block ×5, first 2 shown]
	v_cvt_f64_f32_e32 v[58:59], v72
	v_cvt_f64_f32_e32 v[60:61], v69
	;; [unrolled: 1-line block ×14, first 2 shown]
	v_mul_f64 v[22:23], v[22:23], s[0:1]
	v_mul_f64 v[24:25], v[24:25], s[0:1]
	;; [unrolled: 1-line block ×30, first 2 shown]
	v_cvt_f32_f64_e32 v22, v[22:23]
	v_cvt_f32_f64_e32 v23, v[24:25]
	;; [unrolled: 1-line block ×30, first 2 shown]
	v_add_co_u32 v56, vcc_lo, v52, s2
	v_add_co_ci_u32_e32 v57, vcc_lo, s3, v53, vcc_lo
	v_add_co_u32 v58, vcc_lo, v56, s2
	v_add_co_ci_u32_e32 v59, vcc_lo, s3, v57, vcc_lo
	global_store_dwordx2 v[0:1], v[22:23], off
	global_store_dwordx2 v[2:3], v[24:25], off
	;; [unrolled: 1-line block ×15, first 2 shown]
.LBB0_2:
	s_endpgm
	.section	.rodata,"a",@progbits
	.p2align	6, 0x0
	.amdhsa_kernel bluestein_single_fwd_len3645_dim1_sp_op_CI_CI
		.amdhsa_group_segment_fixed_size 29160
		.amdhsa_private_segment_fixed_size 8
		.amdhsa_kernarg_size 104
		.amdhsa_user_sgpr_count 6
		.amdhsa_user_sgpr_private_segment_buffer 1
		.amdhsa_user_sgpr_dispatch_ptr 0
		.amdhsa_user_sgpr_queue_ptr 0
		.amdhsa_user_sgpr_kernarg_segment_ptr 1
		.amdhsa_user_sgpr_dispatch_id 0
		.amdhsa_user_sgpr_flat_scratch_init 0
		.amdhsa_user_sgpr_private_segment_size 0
		.amdhsa_wavefront_size32 1
		.amdhsa_uses_dynamic_stack 0
		.amdhsa_system_sgpr_private_segment_wavefront_offset 1
		.amdhsa_system_sgpr_workgroup_id_x 1
		.amdhsa_system_sgpr_workgroup_id_y 0
		.amdhsa_system_sgpr_workgroup_id_z 0
		.amdhsa_system_sgpr_workgroup_info 0
		.amdhsa_system_vgpr_workitem_id 0
		.amdhsa_next_free_vgpr 256
		.amdhsa_next_free_sgpr 24
		.amdhsa_reserve_vcc 1
		.amdhsa_reserve_flat_scratch 0
		.amdhsa_float_round_mode_32 0
		.amdhsa_float_round_mode_16_64 0
		.amdhsa_float_denorm_mode_32 3
		.amdhsa_float_denorm_mode_16_64 3
		.amdhsa_dx10_clamp 1
		.amdhsa_ieee_mode 1
		.amdhsa_fp16_overflow 0
		.amdhsa_workgroup_processor_mode 1
		.amdhsa_memory_ordered 1
		.amdhsa_forward_progress 0
		.amdhsa_shared_vgpr_count 0
		.amdhsa_exception_fp_ieee_invalid_op 0
		.amdhsa_exception_fp_denorm_src 0
		.amdhsa_exception_fp_ieee_div_zero 0
		.amdhsa_exception_fp_ieee_overflow 0
		.amdhsa_exception_fp_ieee_underflow 0
		.amdhsa_exception_fp_ieee_inexact 0
		.amdhsa_exception_int_div_zero 0
	.end_amdhsa_kernel
	.text
.Lfunc_end0:
	.size	bluestein_single_fwd_len3645_dim1_sp_op_CI_CI, .Lfunc_end0-bluestein_single_fwd_len3645_dim1_sp_op_CI_CI
                                        ; -- End function
	.section	.AMDGPU.csdata,"",@progbits
; Kernel info:
; codeLenInByte = 17812
; NumSgprs: 26
; NumVgprs: 256
; ScratchSize: 8
; MemoryBound: 0
; FloatMode: 240
; IeeeMode: 1
; LDSByteSize: 29160 bytes/workgroup (compile time only)
; SGPRBlocks: 3
; VGPRBlocks: 31
; NumSGPRsForWavesPerEU: 26
; NumVGPRsForWavesPerEU: 256
; Occupancy: 4
; WaveLimiterHint : 1
; COMPUTE_PGM_RSRC2:SCRATCH_EN: 1
; COMPUTE_PGM_RSRC2:USER_SGPR: 6
; COMPUTE_PGM_RSRC2:TRAP_HANDLER: 0
; COMPUTE_PGM_RSRC2:TGID_X_EN: 1
; COMPUTE_PGM_RSRC2:TGID_Y_EN: 0
; COMPUTE_PGM_RSRC2:TGID_Z_EN: 0
; COMPUTE_PGM_RSRC2:TIDIG_COMP_CNT: 0
	.text
	.p2alignl 6, 3214868480
	.fill 48, 4, 3214868480
	.type	__hip_cuid_f968219285046f1e,@object ; @__hip_cuid_f968219285046f1e
	.section	.bss,"aw",@nobits
	.globl	__hip_cuid_f968219285046f1e
__hip_cuid_f968219285046f1e:
	.byte	0                               ; 0x0
	.size	__hip_cuid_f968219285046f1e, 1

	.ident	"AMD clang version 19.0.0git (https://github.com/RadeonOpenCompute/llvm-project roc-6.4.0 25133 c7fe45cf4b819c5991fe208aaa96edf142730f1d)"
	.section	".note.GNU-stack","",@progbits
	.addrsig
	.addrsig_sym __hip_cuid_f968219285046f1e
	.amdgpu_metadata
---
amdhsa.kernels:
  - .args:
      - .actual_access:  read_only
        .address_space:  global
        .offset:         0
        .size:           8
        .value_kind:     global_buffer
      - .actual_access:  read_only
        .address_space:  global
        .offset:         8
        .size:           8
        .value_kind:     global_buffer
      - .actual_access:  read_only
        .address_space:  global
        .offset:         16
        .size:           8
        .value_kind:     global_buffer
      - .actual_access:  read_only
        .address_space:  global
        .offset:         24
        .size:           8
        .value_kind:     global_buffer
      - .actual_access:  read_only
        .address_space:  global
        .offset:         32
        .size:           8
        .value_kind:     global_buffer
      - .offset:         40
        .size:           8
        .value_kind:     by_value
      - .address_space:  global
        .offset:         48
        .size:           8
        .value_kind:     global_buffer
      - .address_space:  global
        .offset:         56
        .size:           8
        .value_kind:     global_buffer
      - .address_space:  global
        .offset:         64
        .size:           8
        .value_kind:     global_buffer
      - .address_space:  global
        .offset:         72
        .size:           8
        .value_kind:     global_buffer
      - .offset:         80
        .size:           4
        .value_kind:     by_value
      - .address_space:  global
        .offset:         88
        .size:           8
        .value_kind:     global_buffer
      - .address_space:  global
        .offset:         96
        .size:           8
        .value_kind:     global_buffer
    .group_segment_fixed_size: 29160
    .kernarg_segment_align: 8
    .kernarg_segment_size: 104
    .language:       OpenCL C
    .language_version:
      - 2
      - 0
    .max_flat_workgroup_size: 243
    .name:           bluestein_single_fwd_len3645_dim1_sp_op_CI_CI
    .private_segment_fixed_size: 8
    .sgpr_count:     26
    .sgpr_spill_count: 0
    .symbol:         bluestein_single_fwd_len3645_dim1_sp_op_CI_CI.kd
    .uniform_work_group_size: 1
    .uses_dynamic_stack: false
    .vgpr_count:     256
    .vgpr_spill_count: 1
    .wavefront_size: 32
    .workgroup_processor_mode: 1
amdhsa.target:   amdgcn-amd-amdhsa--gfx1030
amdhsa.version:
  - 1
  - 2
...

	.end_amdgpu_metadata
